;; amdgpu-corpus repo=ROCm/rocFFT kind=compiled arch=gfx950 opt=O3
	.text
	.amdgcn_target "amdgcn-amd-amdhsa--gfx950"
	.amdhsa_code_object_version 6
	.protected	bluestein_single_fwd_len1904_dim1_sp_op_CI_CI ; -- Begin function bluestein_single_fwd_len1904_dim1_sp_op_CI_CI
	.globl	bluestein_single_fwd_len1904_dim1_sp_op_CI_CI
	.p2align	8
	.type	bluestein_single_fwd_len1904_dim1_sp_op_CI_CI,@function
bluestein_single_fwd_len1904_dim1_sp_op_CI_CI: ; @bluestein_single_fwd_len1904_dim1_sp_op_CI_CI
; %bb.0:
	s_load_dwordx4 s[12:15], s[0:1], 0x28
	v_mul_u32_u24_e32 v1, 0x227, v0
	v_mov_b32_e32 v85, 0
	v_add_u32_sdwa v212, s2, v1 dst_sel:DWORD dst_unused:UNUSED_PAD src0_sel:DWORD src1_sel:WORD_1
	v_mov_b32_e32 v213, v85
	s_waitcnt lgkmcnt(0)
	v_cmp_gt_u64_e32 vcc, s[12:13], v[212:213]
	s_and_saveexec_b64 s[2:3], vcc
	s_cbranch_execz .LBB0_25
; %bb.1:
	s_load_dwordx2 s[12:13], s[0:1], 0x0
	s_load_dwordx2 s[16:17], s[0:1], 0x38
	s_movk_i32 s2, 0x77
	v_mul_lo_u16_sdwa v1, v1, s2 dst_sel:DWORD dst_unused:UNUSED_PAD src0_sel:WORD_1 src1_sel:DWORD
	v_sub_u16_e32 v84, v0, v1
	s_movk_i32 s2, 0x70
	v_cmp_gt_u16_e64 s[6:7], s2, v84
	v_lshlrev_b32_e32 v86, 3, v84
	s_and_saveexec_b64 s[2:3], s[6:7]
	s_cbranch_execz .LBB0_3
; %bb.2:
	s_load_dwordx2 s[4:5], s[0:1], 0x18
	v_mov_b32_e32 v0, s14
	v_mov_b32_e32 v1, s15
	;; [unrolled: 1-line block ×3, first 2 shown]
	v_or_b32_e32 v38, 0x380, v84
	s_waitcnt lgkmcnt(0)
	s_load_dwordx4 s[8:11], s[4:5], 0x0
	v_mov_b32_e32 v87, 0
	v_lshlrev_b32_e32 v48, 3, v38
	v_or_b32_e32 v70, 0x700, v84
	s_waitcnt lgkmcnt(0)
	v_mad_u64_u32 v[2:3], s[4:5], s10, v212, 0
	v_mad_u64_u32 v[4:5], s[4:5], s8, v84, 0
	v_mov_b32_e32 v6, v3
	v_mov_b32_e32 v8, v5
	v_mad_u64_u32 v[6:7], s[4:5], s11, v212, v[6:7]
	v_mov_b32_e32 v3, v6
	v_mad_u64_u32 v[6:7], s[4:5], s9, v84, v[8:9]
	v_mov_b32_e32 v5, v6
	v_lshl_add_u64 v[2:3], v[2:3], 3, v[0:1]
	v_lshl_add_u64 v[4:5], v[4:5], 3, v[2:3]
	global_load_dwordx2 v[0:1], v[4:5], off
	v_mad_u64_u32 v[4:5], s[4:5], s8, v64, v[4:5]
	s_mul_i32 s4, s9, 0x380
	s_nop 0
	v_add_u32_e32 v5, s4, v5
	v_mad_u64_u32 v[8:9], s[10:11], s8, v64, v[4:5]
	v_add_u32_e32 v9, s4, v9
	v_mad_u64_u32 v[16:17], s[10:11], s8, v64, v[8:9]
	v_add_u32_e32 v17, s4, v17
	v_mad_u64_u32 v[18:19], s[10:11], s8, v64, v[16:17]
	v_add_u32_e32 v19, s4, v19
	global_load_dwordx2 v[10:11], v86, s[12:13]
	global_load_dwordx2 v[12:13], v86, s[12:13] offset:896
	global_load_dwordx2 v[14:15], v86, s[12:13] offset:1792
	global_load_dwordx2 v[20:21], v[4:5], off
	global_load_dwordx2 v[22:23], v[8:9], off
	;; [unrolled: 1-line block ×4, first 2 shown]
	global_load_dwordx2 v[28:29], v86, s[12:13] offset:2688
	global_load_dwordx2 v[30:31], v86, s[12:13] offset:3584
	v_mad_u64_u32 v[4:5], s[10:11], s8, v64, v[18:19]
	v_add_u32_e32 v5, s4, v5
	global_load_dwordx2 v[8:9], v[4:5], off
	v_mad_u64_u32 v[4:5], s[10:11], s8, v64, v[4:5]
	v_mad_u64_u32 v[34:35], s[10:11], s8, v38, 0
	v_add_u32_e32 v5, s4, v5
	v_mov_b32_e32 v36, v35
	global_load_dwordx2 v[18:19], v[4:5], off
	v_mad_u64_u32 v[4:5], s[10:11], s8, v64, v[4:5]
	v_mad_u64_u32 v[36:37], s[10:11], s9, v38, v[36:37]
	v_lshl_add_u64 v[6:7], s[12:13], 0, v[86:87]
	s_movk_i32 s5, 0x1000
	v_add_u32_e32 v5, s4, v5
	v_mov_b32_e32 v35, v36
	v_mov_b32_e32 v36, 0x700
	v_add_co_u32_e32 v16, vcc, s5, v6
	global_load_dwordx2 v[32:33], v[4:5], off
	v_mad_u64_u32 v[4:5], s[10:11], s8, v36, v[4:5]
	s_mul_i32 s5, s9, 0x700
	v_addc_co_u32_e32 v17, vcc, 0, v7, vcc
	v_lshl_add_u64 v[34:35], v[34:35], 3, v[2:3]
	v_add_u32_e32 v5, s5, v5
	global_load_dwordx2 v[34:35], v[34:35], off
	s_nop 0
	global_load_dwordx2 v[36:37], v[16:17], off offset:384
	global_load_dwordx2 v[38:39], v[4:5], off
	global_load_dwordx2 v[40:41], v[16:17], off offset:1280
	global_load_dwordx2 v[42:43], v[16:17], off offset:2176
	;; [unrolled: 1-line block ×3, first 2 shown]
	v_mad_u64_u32 v[4:5], s[10:11], s8, v64, v[4:5]
	v_add_u32_e32 v5, s4, v5
	global_load_dwordx2 v[16:17], v[4:5], off
	v_mad_u64_u32 v[4:5], s[10:11], s8, v64, v[4:5]
	v_add_u32_e32 v5, s4, v5
	s_movk_i32 s5, 0x2000
	global_load_dwordx2 v[50:51], v[4:5], off
	v_mad_u64_u32 v[4:5], s[10:11], s8, v64, v[4:5]
	v_add_co_u32_e32 v46, vcc, s5, v6
	v_add_u32_e32 v5, s4, v5
	s_nop 0
	v_addc_co_u32_e32 v47, vcc, 0, v7, vcc
	global_load_dwordx2 v[48:49], v48, s[12:13]
	s_nop 0
	global_load_dwordx2 v[52:53], v[4:5], off
	global_load_dwordx2 v[54:55], v[46:47], off offset:768
	global_load_dwordx2 v[56:57], v[46:47], off offset:1664
	;; [unrolled: 1-line block ×3, first 2 shown]
	v_mad_u64_u32 v[4:5], s[10:11], s8, v64, v[4:5]
	v_add_u32_e32 v5, s4, v5
	global_load_dwordx2 v[60:61], v[4:5], off
	v_mad_u64_u32 v[4:5], s[10:11], s8, v64, v[4:5]
	v_add_u32_e32 v5, s4, v5
	global_load_dwordx2 v[62:63], v[4:5], off
	s_movk_i32 s5, 0x3000
	v_mad_u64_u32 v[4:5], s[10:11], s8, v64, v[4:5]
	v_add_co_u32_e32 v6, vcc, s5, v6
	v_add_u32_e32 v5, s4, v5
	s_nop 0
	v_addc_co_u32_e32 v7, vcc, 0, v7, vcc
	global_load_dwordx2 v[46:47], v[46:47], off offset:3456
	s_nop 0
	global_load_dwordx2 v[64:65], v[4:5], off
	global_load_dwordx2 v[66:67], v[6:7], off offset:256
	global_load_dwordx2 v[68:69], v[6:7], off offset:1152
	v_mad_u64_u32 v[4:5], s[4:5], s8, v70, 0
	v_mov_b32_e32 v6, v5
	v_mad_u64_u32 v[6:7], s[4:5], s9, v70, v[6:7]
	v_mov_b32_e32 v5, v6
	v_lshl_add_u64 v[2:3], v[4:5], 3, v[2:3]
	v_lshlrev_b32_e32 v4, 3, v70
	global_load_dwordx2 v[2:3], v[2:3], off
	s_waitcnt vmcnt(31)
	v_mul_f32_e32 v6, v1, v11
	global_load_dwordx2 v[4:5], v4, s[12:13]
	v_fmac_f32_e32 v6, v0, v10
	v_mul_f32_e32 v0, v0, v11
	v_fma_f32 v7, v1, v10, -v0
	s_waitcnt vmcnt(29)
	v_mul_f32_e32 v0, v21, v13
	v_mul_f32_e32 v1, v20, v13
	v_fmac_f32_e32 v0, v20, v12
	v_fma_f32 v1, v21, v12, -v1
	ds_write2_b64 v86, v[6:7], v[0:1] offset1:112
	s_waitcnt vmcnt(28)
	v_mul_f32_e32 v0, v23, v15
	v_mul_f32_e32 v1, v22, v15
	s_waitcnt vmcnt(25)
	v_mul_f32_e32 v6, v25, v29
	v_mul_f32_e32 v7, v24, v29
	v_fmac_f32_e32 v0, v22, v14
	v_fma_f32 v1, v23, v14, -v1
	v_fmac_f32_e32 v6, v24, v28
	v_fma_f32 v7, v25, v28, -v7
	v_add_u32_e32 v10, 0x400, v86
	ds_write2_b64 v10, v[0:1], v[6:7] offset0:96 offset1:208
	s_waitcnt vmcnt(24)
	v_mul_f32_e32 v0, v27, v31
	v_mul_f32_e32 v1, v26, v31
	v_fmac_f32_e32 v0, v26, v30
	v_fma_f32 v1, v27, v30, -v1
	s_waitcnt vmcnt(19)
	v_mul_f32_e32 v6, v9, v37
	v_mul_f32_e32 v7, v8, v37
	v_fmac_f32_e32 v6, v8, v36
	v_fma_f32 v7, v9, v36, -v7
	v_add_u32_e32 v8, 0xc00, v86
	ds_write2_b64 v8, v[0:1], v[6:7] offset0:64 offset1:176
	s_waitcnt vmcnt(17)
	v_mul_f32_e32 v0, v19, v41
	v_mul_f32_e32 v1, v18, v41
	s_waitcnt vmcnt(16)
	v_mul_f32_e32 v6, v33, v43
	v_mul_f32_e32 v7, v32, v43
	v_fmac_f32_e32 v0, v18, v40
	v_fma_f32 v1, v19, v40, -v1
	v_fmac_f32_e32 v6, v32, v42
	v_fma_f32 v7, v33, v42, -v7
	v_add_u32_e32 v8, 0x1400, v86
	ds_write2_b64 v8, v[0:1], v[6:7] offset0:32 offset1:144
	s_waitcnt vmcnt(15)
	v_mul_f32_e32 v6, v39, v45
	v_mul_f32_e32 v7, v38, v45
	v_fmac_f32_e32 v6, v38, v44
	v_fma_f32 v7, v39, v44, -v7
	v_add_u32_e32 v8, 0x1800, v86
	s_waitcnt vmcnt(12)
	v_mul_f32_e32 v0, v35, v49
	v_mul_f32_e32 v1, v34, v49
	v_fmac_f32_e32 v0, v34, v48
	v_fma_f32 v1, v35, v48, -v1
	ds_write2_b64 v8, v[0:1], v[6:7] offset0:128 offset1:240
	s_waitcnt vmcnt(10)
	v_mul_f32_e32 v0, v17, v55
	v_mul_f32_e32 v1, v16, v55
	s_waitcnt vmcnt(9)
	v_mul_f32_e32 v6, v51, v57
	v_mul_f32_e32 v7, v50, v57
	v_fmac_f32_e32 v0, v16, v54
	v_fma_f32 v1, v17, v54, -v1
	v_fmac_f32_e32 v6, v50, v56
	v_fma_f32 v7, v51, v56, -v7
	v_add_u32_e32 v8, 0x2000, v86
	ds_write2_b64 v8, v[0:1], v[6:7] offset0:96 offset1:208
	s_waitcnt vmcnt(8)
	v_mul_f32_e32 v0, v53, v59
	v_mul_f32_e32 v1, v52, v59
	v_fmac_f32_e32 v0, v52, v58
	s_waitcnt vmcnt(5)
	v_mul_f32_e32 v6, v61, v47
	v_mul_f32_e32 v7, v60, v47
	v_fma_f32 v1, v53, v58, -v1
	v_fmac_f32_e32 v6, v60, v46
	v_fma_f32 v7, v61, v46, -v7
	v_add_u32_e32 v8, 0x2800, v86
	ds_write2_b64 v8, v[0:1], v[6:7] offset0:64 offset1:176
	s_waitcnt vmcnt(3)
	v_mul_f32_e32 v0, v63, v67
	v_mul_f32_e32 v1, v62, v67
	s_waitcnt vmcnt(2)
	v_mul_f32_e32 v6, v65, v69
	v_mul_f32_e32 v7, v64, v69
	v_fmac_f32_e32 v0, v62, v66
	v_fma_f32 v1, v63, v66, -v1
	v_fmac_f32_e32 v6, v64, v68
	v_fma_f32 v7, v65, v68, -v7
	v_add_u32_e32 v8, 0x3000, v86
	ds_write2_b64 v8, v[0:1], v[6:7] offset0:32 offset1:144
	s_waitcnt vmcnt(0)
	v_mul_f32_e32 v0, v3, v5
	v_mul_f32_e32 v1, v2, v5
	v_fmac_f32_e32 v0, v2, v4
	v_fma_f32 v1, v3, v4, -v1
	ds_write_b64 v86, v[0:1] offset:14336
.LBB0_3:
	s_or_b64 exec, exec, s[2:3]
	s_load_dwordx2 s[2:3], s[0:1], 0x20
	s_load_dwordx2 s[14:15], s[0:1], 0x8
	v_mov_b64_e32 v[0:1], 0
	s_waitcnt lgkmcnt(0)
	s_barrier
	s_waitcnt lgkmcnt(0)
                                        ; implicit-def: $vgpr6
                                        ; implicit-def: $vgpr12
                                        ; implicit-def: $vgpr10
                                        ; implicit-def: $vgpr20
                                        ; implicit-def: $vgpr18
                                        ; implicit-def: $vgpr28
                                        ; implicit-def: $vgpr26
                                        ; implicit-def: $vgpr34
	s_and_saveexec_b64 s[0:1], s[6:7]
	s_cbranch_execz .LBB0_5
; %bb.4:
	v_add_u32_e32 v4, 0x400, v86
	ds_read2_b64 v[24:27], v4 offset0:96 offset1:208
	v_add_u32_e32 v4, 0xc00, v86
	ds_read2_b64 v[16:19], v4 offset0:64 offset1:176
	;; [unrolled: 2-line block ×3, first 2 shown]
	v_add_u32_e32 v4, 0x1800, v86
	v_add_u32_e32 v12, 0x2000, v86
	v_add_u32_e32 v20, 0x2800, v86
	v_add_u32_e32 v28, 0x3000, v86
	ds_read2_b64 v[0:3], v86 offset1:112
	ds_read2_b64 v[4:7], v4 offset0:128 offset1:240
	ds_read2_b64 v[12:15], v12 offset0:96 offset1:208
	;; [unrolled: 1-line block ×4, first 2 shown]
	ds_read_b64 v[34:35], v86 offset:14336
.LBB0_5:
	s_or_b64 exec, exec, s[0:1]
	s_waitcnt lgkmcnt(0)
	v_pk_add_f32 v[60:61], v[2:3], v[34:35] neg_lo:[0,1] neg_hi:[0,1]
	s_mov_b32 s28, 0xbeb8f4ab
	v_pk_add_f32 v[56:57], v[34:35], v[2:3]
	v_pk_add_f32 v[58:59], v[24:25], v[30:31] neg_lo:[0,1] neg_hi:[0,1]
	s_mov_b32 s18, 0x3f6eb680
	v_pk_mul_f32 v[64:65], v[60:61], s[28:29] op_sel_hi:[1,0]
	s_mov_b32 s42, 0xbf2c7751
	v_pk_add_f32 v[54:55], v[30:31], v[24:25]
	v_pk_fma_f32 v[62:63], v[56:57], s[18:19], v[64:65] op_sel:[0,0,1] op_sel_hi:[1,0,0]
	v_pk_fma_f32 v[66:67], v[56:57], s[18:19], v[64:65] op_sel:[0,0,1] op_sel_hi:[1,0,0] neg_lo:[0,0,1] neg_hi:[0,0,1]
	s_mov_b32 s10, 0x3f3d2fb0
	v_pk_mul_f32 v[68:69], v[58:59], s[42:43] op_sel_hi:[1,0]
	v_mov_b32_e32 v64, v62
	v_mov_b32_e32 v65, v67
	v_pk_fma_f32 v[70:71], v[54:55], s[10:11], v[68:69] op_sel:[0,0,1] op_sel_hi:[1,0,0]
	v_pk_fma_f32 v[72:73], v[54:55], s[10:11], v[68:69] op_sel:[0,0,1] op_sel_hi:[1,0,0] neg_lo:[0,0,1] neg_hi:[0,0,1]
	v_pk_add_f32 v[52:53], v[26:27], v[28:29] neg_lo:[0,1] neg_hi:[0,1]
	v_pk_add_f32 v[64:65], v[64:65], v[0:1]
	v_mov_b32_e32 v68, v70
	v_mov_b32_e32 v69, v73
	s_mov_b32 s48, 0xbf65296c
	v_pk_add_f32 v[50:51], v[28:29], v[26:27]
	v_pk_add_f32 v[64:65], v[68:69], v[64:65]
	s_mov_b32 s8, 0x3ee437d1
	v_pk_mul_f32 v[68:69], v[52:53], s[48:49] op_sel_hi:[1,0]
	v_pk_add_f32 v[48:49], v[16:17], v[22:23] neg_lo:[0,1] neg_hi:[0,1]
	v_pk_fma_f32 v[74:75], v[50:51], s[8:9], v[68:69] op_sel:[0,0,1] op_sel_hi:[1,0,0]
	v_pk_fma_f32 v[76:77], v[50:51], s[8:9], v[68:69] op_sel:[0,0,1] op_sel_hi:[1,0,0] neg_lo:[0,0,1] neg_hi:[0,0,1]
	v_mov_b32_e32 v68, v74
	v_mov_b32_e32 v69, v77
	s_mov_b32 s40, 0xbf7ee86f
	v_pk_add_f32 v[46:47], v[22:23], v[16:17]
	v_pk_add_f32 v[64:65], v[68:69], v[64:65]
	s_mov_b32 s4, 0x3dbcf732
	v_pk_mul_f32 v[68:69], v[48:49], s[40:41] op_sel_hi:[1,0]
	v_pk_add_f32 v[44:45], v[18:19], v[20:21] neg_lo:[0,1] neg_hi:[0,1]
	v_pk_fma_f32 v[80:81], v[46:47], s[4:5], v[68:69] op_sel:[0,0,1] op_sel_hi:[1,0,0]
	v_pk_fma_f32 v[82:83], v[46:47], s[4:5], v[68:69] op_sel:[0,0,1] op_sel_hi:[1,0,0] neg_lo:[0,0,1] neg_hi:[0,0,1]
	;; [unrolled: 10-line block ×4, first 2 shown]
	v_mov_b32_e32 v68, v92
	v_mov_b32_e32 v69, v95
	s_mov_b32 s34, 0xbf06c442
	v_pk_add_f32 v[32:33], v[12:13], v[10:11]
	v_pk_add_f32 v[64:65], v[68:69], v[64:65]
	s_mov_b32 s30, 0xbf59a7d5
	v_pk_mul_f32 v[68:69], v[36:37], s[34:35] op_sel_hi:[1,0]
	s_mov_b32 s38, 0xbe3c28d5
	v_pk_fma_f32 v[96:97], v[32:33], s[30:31], v[68:69] op_sel:[0,0,1] op_sel_hi:[1,0,0]
	v_pk_fma_f32 v[98:99], v[32:33], s[30:31], v[68:69] op_sel:[0,0,1] op_sel_hi:[1,0,0] neg_lo:[0,0,1] neg_hi:[0,0,1]
	v_mov_b32_e32 v68, v96
	v_mov_b32_e32 v69, v99
	v_pk_add_f32 v[78:79], v[4:5], v[6:7] neg_lo:[0,1] neg_hi:[0,1]
	v_pk_add_f32 v[64:65], v[68:69], v[64:65]
	s_mov_b32 s36, 0xbf7ba420
	v_pk_add_f32 v[68:69], v[6:7], v[4:5]
	v_pk_mul_f32 v[102:103], v[78:79], s[38:39] op_sel_hi:[1,0]
	v_mul_lo_u16_e32 v99, 17, v84
	v_pk_fma_f32 v[100:101], v[68:69], s[36:37], v[102:103] op_sel:[0,0,1] op_sel_hi:[1,0,0]
	v_pk_fma_f32 v[102:103], v[68:69], s[36:37], v[102:103] op_sel:[0,0,1] op_sel_hi:[1,0,0] neg_lo:[0,0,1] neg_hi:[0,0,1]
	v_mov_b32_e32 v104, v100
	v_mov_b32_e32 v105, v103
	v_pk_add_f32 v[64:65], v[104:105], v[64:65]
	s_barrier
	s_and_saveexec_b64 s[0:1], s[6:7]
	s_cbranch_execz .LBB0_7
; %bb.6:
	v_pk_add_f32 v[2:3], v[2:3], v[0:1]
	v_mov_b32_e32 v67, v63
	v_pk_add_f32 v[2:3], v[24:25], v[2:3]
	v_mov_b32_e32 v73, v71
	;; [unrolled: 2-line block ×6, first 2 shown]
	v_pk_add_f32 v[2:3], v[10:11], v[2:3]
	v_lshlrev_b32_e32 v87, 3, v99
	v_pk_add_f32 v[2:3], v[4:5], v[2:3]
	v_pk_add_f32 v[4:5], v[66:67], v[0:1]
	;; [unrolled: 1-line block ×13, first 2 shown]
	v_mov_b32_e32 v213, v99
	v_mov_b32_e32 v99, v97
	v_pk_add_f32 v[2:3], v[30:31], v[2:3]
	v_pk_add_f32 v[4:5], v[98:99], v[4:5]
	v_mov_b32_e32 v103, v101
	v_pk_add_f32 v[2:3], v[34:35], v[2:3]
	v_pk_add_f32 v[4:5], v[102:103], v[4:5]
	ds_write2_b64 v87, v[2:3], v[4:5] offset1:1
	v_pk_mul_f32 v[4:5], v[60:61], s[42:43] op_sel_hi:[1,0]
	v_pk_mul_f32 v[8:9], v[58:59], s[40:41] op_sel_hi:[1,0]
	v_pk_fma_f32 v[2:3], v[56:57], s[10:11], v[4:5] op_sel:[0,0,1] op_sel_hi:[1,0,0] neg_lo:[0,0,1] neg_hi:[0,0,1]
	v_pk_fma_f32 v[4:5], v[56:57], s[10:11], v[4:5] op_sel:[0,0,1] op_sel_hi:[1,0,0]
	v_mov_b32_e32 v6, v2
	v_mov_b32_e32 v7, v5
	v_pk_add_f32 v[10:11], v[6:7], v[0:1]
	v_pk_fma_f32 v[6:7], v[54:55], s[4:5], v[8:9] op_sel:[0,0,1] op_sel_hi:[1,0,0] neg_lo:[0,0,1] neg_hi:[0,0,1]
	v_pk_fma_f32 v[8:9], v[54:55], s[4:5], v[8:9] op_sel:[0,0,1] op_sel_hi:[1,0,0]
	v_pk_mul_f32 v[12:13], v[52:53], s[26:27] op_sel_hi:[1,0]
	v_mov_b32_e32 v14, v6
	v_mov_b32_e32 v15, v9
	v_pk_add_f32 v[14:15], v[14:15], v[10:11]
	v_pk_fma_f32 v[10:11], v[50:51], s[24:25], v[12:13] op_sel:[0,0,1] op_sel_hi:[1,0,0] neg_lo:[0,0,1] neg_hi:[0,0,1]
	v_pk_fma_f32 v[12:13], v[50:51], s[24:25], v[12:13] op_sel:[0,0,1] op_sel_hi:[1,0,0]
	v_pk_mul_f32 v[16:17], v[48:49], s[38:39] op_sel_hi:[1,0]
	v_mov_b32_e32 v18, v10
	v_mov_b32_e32 v19, v13
	s_mov_b32 s54, 0x3f06c442
	v_pk_add_f32 v[18:19], v[18:19], v[14:15]
	v_pk_fma_f32 v[14:15], v[46:47], s[36:37], v[16:17] op_sel:[0,0,1] op_sel_hi:[1,0,0] neg_lo:[0,0,1] neg_hi:[0,0,1]
	v_pk_fma_f32 v[16:17], v[46:47], s[36:37], v[16:17] op_sel:[0,0,1] op_sel_hi:[1,0,0]
	v_pk_mul_f32 v[20:21], v[44:45], s[54:55] op_sel_hi:[1,0]
	v_mov_b32_e32 v22, v14
	v_mov_b32_e32 v23, v17
	s_mov_b32 s52, 0x3f763a35
	;; [unrolled: 7-line block ×4, first 2 shown]
	v_pk_add_f32 v[30:31], v[30:31], v[26:27]
	v_pk_fma_f32 v[26:27], v[32:33], s[8:9], v[28:29] op_sel:[0,0,1] op_sel_hi:[1,0,0] neg_lo:[0,0,1] neg_hi:[0,0,1]
	v_pk_fma_f32 v[28:29], v[32:33], s[8:9], v[28:29] op_sel:[0,0,1] op_sel_hi:[1,0,0]
	v_pk_mul_f32 v[34:35], v[78:79], s[46:47] op_sel_hi:[1,0]
	v_mov_b32_e32 v62, v26
	v_mov_b32_e32 v63, v29
	v_pk_add_f32 v[62:63], v[62:63], v[30:31]
	v_pk_fma_f32 v[30:31], v[68:69], s[18:19], v[34:35] op_sel:[0,0,1] op_sel_hi:[1,0,0] neg_lo:[0,0,1] neg_hi:[0,0,1]
	v_pk_fma_f32 v[34:35], v[68:69], s[18:19], v[34:35] op_sel:[0,0,1] op_sel_hi:[1,0,0]
	v_mov_b32_e32 v66, v30
	v_mov_b32_e32 v67, v35
	v_pk_add_f32 v[88:89], v[66:67], v[62:63]
	v_pk_mul_f32 v[66:67], v[60:61], s[48:49] op_sel_hi:[1,0]
	v_pk_mul_f32 v[72:73], v[58:59], s[26:27] op_sel_hi:[1,0]
	v_pk_fma_f32 v[62:63], v[56:57], s[8:9], v[66:67] op_sel:[0,0,1] op_sel_hi:[1,0,0] neg_lo:[0,0,1] neg_hi:[0,0,1]
	v_pk_fma_f32 v[66:67], v[56:57], s[8:9], v[66:67] op_sel:[0,0,1] op_sel_hi:[1,0,0]
	v_mov_b32_e32 v70, v62
	v_mov_b32_e32 v71, v67
	s_mov_b32 s50, 0x3e3c28d5
	v_pk_add_f32 v[74:75], v[70:71], v[0:1]
	v_pk_fma_f32 v[70:71], v[54:55], s[24:25], v[72:73] op_sel:[0,0,1] op_sel_hi:[1,0,0] neg_lo:[0,0,1] neg_hi:[0,0,1]
	v_pk_fma_f32 v[72:73], v[54:55], s[24:25], v[72:73] op_sel:[0,0,1] op_sel_hi:[1,0,0]
	v_pk_mul_f32 v[76:77], v[52:53], s[50:51] op_sel_hi:[1,0]
	v_mov_b32_e32 v80, v70
	v_mov_b32_e32 v81, v73
	v_pk_add_f32 v[80:81], v[80:81], v[74:75]
	v_pk_fma_f32 v[74:75], v[50:51], s[36:37], v[76:77] op_sel:[0,0,1] op_sel_hi:[1,0,0] neg_lo:[0,0,1] neg_hi:[0,0,1]
	v_pk_fma_f32 v[76:77], v[50:51], s[36:37], v[76:77] op_sel:[0,0,1] op_sel_hi:[1,0,0]
	v_pk_mul_f32 v[82:83], v[48:49], s[52:53] op_sel_hi:[1,0]
	v_mov_b32_e32 v90, v74
	v_mov_b32_e32 v91, v77
	v_pk_add_f32 v[90:91], v[90:91], v[80:81]
	v_pk_fma_f32 v[80:81], v[46:47], s[20:21], v[82:83] op_sel:[0,0,1] op_sel_hi:[1,0,0] neg_lo:[0,0,1] neg_hi:[0,0,1]
	v_pk_fma_f32 v[82:83], v[46:47], s[20:21], v[82:83] op_sel:[0,0,1] op_sel_hi:[1,0,0]
	v_mov_b32_e32 v92, v80
	v_mov_b32_e32 v93, v83
	s_mov_b32 s50, 0x3f2c7751
	v_pk_add_f32 v[94:95], v[92:93], v[90:91]
	v_pk_mul_f32 v[92:93], v[44:45], s[50:51] op_sel_hi:[1,0]
	v_pk_mul_f32 v[110:111], v[58:59], s[38:39] op_sel_hi:[1,0]
	v_pk_fma_f32 v[90:91], v[42:43], s[10:11], v[92:93] op_sel:[0,0,1] op_sel_hi:[1,0,0] neg_lo:[0,0,1] neg_hi:[0,0,1]
	v_pk_fma_f32 v[92:93], v[42:43], s[10:11], v[92:93] op_sel:[0,0,1] op_sel_hi:[1,0,0]
	v_mov_b32_e32 v96, v90
	v_mov_b32_e32 v97, v93
	v_pk_add_f32 v[98:99], v[96:97], v[94:95]
	v_pk_mul_f32 v[96:97], v[40:41], s[28:29] op_sel_hi:[1,0]
	v_pk_fma_f32 v[112:113], v[54:55], s[36:37], v[110:111] op_sel:[0,0,1] op_sel_hi:[1,0,0] neg_lo:[0,0,1] neg_hi:[0,0,1]
	v_pk_fma_f32 v[94:95], v[38:39], s[18:19], v[96:97] op_sel:[0,0,1] op_sel_hi:[1,0,0] neg_lo:[0,0,1] neg_hi:[0,0,1]
	v_pk_fma_f32 v[96:97], v[38:39], s[18:19], v[96:97] op_sel:[0,0,1] op_sel_hi:[1,0,0]
	v_mov_b32_e32 v100, v94
	v_mov_b32_e32 v101, v97
	v_pk_add_f32 v[102:103], v[100:101], v[98:99]
	v_pk_mul_f32 v[100:101], v[36:37], s[40:41] op_sel_hi:[1,0]
	v_pk_fma_f32 v[110:111], v[54:55], s[36:37], v[110:111] op_sel:[0,0,1] op_sel_hi:[1,0,0]
	v_pk_fma_f32 v[98:99], v[32:33], s[4:5], v[100:101] op_sel:[0,0,1] op_sel_hi:[1,0,0] neg_lo:[0,0,1] neg_hi:[0,0,1]
	v_pk_fma_f32 v[100:101], v[32:33], s[4:5], v[100:101] op_sel:[0,0,1] op_sel_hi:[1,0,0]
	v_mov_b32_e32 v104, v98
	v_mov_b32_e32 v105, v101
	v_pk_add_f32 v[106:107], v[104:105], v[102:103]
	v_pk_mul_f32 v[104:105], v[78:79], s[34:35] op_sel_hi:[1,0]
	v_mov_b32_e32 v114, v112
	v_pk_fma_f32 v[102:103], v[68:69], s[30:31], v[104:105] op_sel:[0,0,1] op_sel_hi:[1,0,0] neg_lo:[0,0,1] neg_hi:[0,0,1]
	v_pk_fma_f32 v[104:105], v[68:69], s[30:31], v[104:105] op_sel:[0,0,1] op_sel_hi:[1,0,0]
	v_mov_b32_e32 v108, v102
	v_mov_b32_e32 v109, v105
	v_pk_add_f32 v[106:107], v[108:109], v[106:107]
	ds_write2_b64 v87, v[88:89], v[106:107] offset0:2 offset1:3
	v_pk_mul_f32 v[88:89], v[60:61], s[40:41] op_sel_hi:[1,0]
	v_mov_b32_e32 v115, v111
	v_pk_fma_f32 v[108:109], v[56:57], s[4:5], v[88:89] op_sel:[0,0,1] op_sel_hi:[1,0,0] neg_lo:[0,0,1] neg_hi:[0,0,1]
	v_pk_fma_f32 v[106:107], v[56:57], s[4:5], v[88:89] op_sel:[0,0,1] op_sel_hi:[1,0,0]
	v_mov_b32_e32 v88, v108
	v_mov_b32_e32 v89, v107
	v_pk_add_f32 v[88:89], v[88:89], v[0:1]
	v_pk_mul_f32 v[116:117], v[52:53], s[52:53] op_sel_hi:[1,0]
	v_pk_add_f32 v[88:89], v[114:115], v[88:89]
	v_pk_fma_f32 v[114:115], v[50:51], s[20:21], v[116:117] op_sel:[0,0,1] op_sel_hi:[1,0,0] neg_lo:[0,0,1] neg_hi:[0,0,1]
	v_pk_fma_f32 v[116:117], v[50:51], s[20:21], v[116:117] op_sel:[0,0,1] op_sel_hi:[1,0,0]
	v_mov_b32_e32 v118, v114
	v_mov_b32_e32 v119, v117
	v_pk_mul_f32 v[120:121], v[48:49], s[46:47] op_sel_hi:[1,0]
	v_pk_add_f32 v[88:89], v[118:119], v[88:89]
	v_pk_fma_f32 v[118:119], v[46:47], s[18:19], v[120:121] op_sel:[0,0,1] op_sel_hi:[1,0,0] neg_lo:[0,0,1] neg_hi:[0,0,1]
	v_pk_fma_f32 v[120:121], v[46:47], s[18:19], v[120:121] op_sel:[0,0,1] op_sel_hi:[1,0,0]
	v_mov_b32_e32 v122, v118
	v_mov_b32_e32 v123, v121
	;; [unrolled: 6-line block ×3, first 2 shown]
	v_pk_mul_f32 v[128:129], v[40:41], s[34:35] op_sel_hi:[1,0]
	v_pk_add_f32 v[88:89], v[126:127], v[88:89]
	v_pk_fma_f32 v[126:127], v[38:39], s[30:31], v[128:129] op_sel:[0,0,1] op_sel_hi:[1,0,0] neg_lo:[0,0,1] neg_hi:[0,0,1]
	v_pk_fma_f32 v[128:129], v[38:39], s[30:31], v[128:129] op_sel:[0,0,1] op_sel_hi:[1,0,0]
	s_mov_b32 s56, 0x3f4c4adb
	v_mov_b32_e32 v130, v126
	v_mov_b32_e32 v131, v129
	v_pk_mul_f32 v[132:133], v[36:37], s[56:57] op_sel_hi:[1,0]
	v_pk_add_f32 v[88:89], v[130:131], v[88:89]
	v_pk_fma_f32 v[130:131], v[32:33], s[24:25], v[132:133] op_sel:[0,0,1] op_sel_hi:[1,0,0] neg_lo:[0,0,1] neg_hi:[0,0,1]
	v_pk_fma_f32 v[132:133], v[32:33], s[24:25], v[132:133] op_sel:[0,0,1] op_sel_hi:[1,0,0]
	v_mov_b32_e32 v134, v130
	v_mov_b32_e32 v135, v133
	v_pk_mul_f32 v[136:137], v[78:79], s[50:51] op_sel_hi:[1,0]
	v_pk_add_f32 v[88:89], v[134:135], v[88:89]
	v_pk_fma_f32 v[134:135], v[68:69], s[10:11], v[136:137] op_sel:[0,0,1] op_sel_hi:[1,0,0] neg_lo:[0,0,1] neg_hi:[0,0,1]
	v_pk_fma_f32 v[136:137], v[68:69], s[10:11], v[136:137] op_sel:[0,0,1] op_sel_hi:[1,0,0]
	v_mov_b32_e32 v138, v134
	v_mov_b32_e32 v139, v137
	v_pk_add_f32 v[168:169], v[138:139], v[88:89]
	v_pk_mul_f32 v[88:89], v[60:61], s[22:23] op_sel_hi:[1,0]
	v_pk_mul_f32 v[174:175], v[58:59], s[52:53] op_sel_hi:[1,0]
	v_pk_fma_f32 v[138:139], v[56:57], s[20:21], v[88:89] op_sel:[0,0,1] op_sel_hi:[1,0,0] neg_lo:[0,0,1] neg_hi:[0,0,1]
	v_pk_fma_f32 v[88:89], v[56:57], s[20:21], v[88:89] op_sel:[0,0,1] op_sel_hi:[1,0,0]
	v_mov_b32_e32 v140, v138
	v_mov_b32_e32 v141, v89
	v_pk_add_f32 v[144:145], v[140:141], v[0:1]
	v_pk_mul_f32 v[140:141], v[58:59], s[54:55] op_sel_hi:[1,0]
	v_pk_fma_f32 v[176:177], v[54:55], s[20:21], v[174:175] op_sel:[0,0,1] op_sel_hi:[1,0,0] neg_lo:[0,0,1] neg_hi:[0,0,1]
	v_pk_fma_f32 v[142:143], v[54:55], s[30:31], v[140:141] op_sel:[0,0,1] op_sel_hi:[1,0,0] neg_lo:[0,0,1] neg_hi:[0,0,1]
	v_pk_fma_f32 v[140:141], v[54:55], s[30:31], v[140:141] op_sel:[0,0,1] op_sel_hi:[1,0,0]
	v_mov_b32_e32 v146, v142
	v_mov_b32_e32 v147, v141
	v_pk_add_f32 v[148:149], v[146:147], v[144:145]
	v_pk_mul_f32 v[146:147], v[52:53], s[50:51] op_sel_hi:[1,0]
	v_pk_fma_f32 v[174:175], v[54:55], s[20:21], v[174:175] op_sel:[0,0,1] op_sel_hi:[1,0,0]
	v_pk_fma_f32 v[144:145], v[50:51], s[10:11], v[146:147] op_sel:[0,0,1] op_sel_hi:[1,0,0] neg_lo:[0,0,1] neg_hi:[0,0,1]
	v_pk_fma_f32 v[146:147], v[50:51], s[10:11], v[146:147] op_sel:[0,0,1] op_sel_hi:[1,0,0]
	v_mov_b32_e32 v150, v144
	v_mov_b32_e32 v151, v147
	v_pk_add_f32 v[152:153], v[150:151], v[148:149]
	v_pk_mul_f32 v[150:151], v[48:49], s[48:49] op_sel_hi:[1,0]
	s_mov_b32 s48, 0x3f7ee86f
	v_pk_fma_f32 v[148:149], v[46:47], s[8:9], v[150:151] op_sel:[0,0,1] op_sel_hi:[1,0,0] neg_lo:[0,0,1] neg_hi:[0,0,1]
	v_pk_fma_f32 v[150:151], v[46:47], s[8:9], v[150:151] op_sel:[0,0,1] op_sel_hi:[1,0,0]
	v_mov_b32_e32 v154, v148
	v_mov_b32_e32 v155, v151
	v_pk_add_f32 v[156:157], v[154:155], v[152:153]
	v_pk_mul_f32 v[154:155], v[44:45], s[38:39] op_sel_hi:[1,0]
	v_mov_b32_e32 v178, v176
	v_pk_fma_f32 v[152:153], v[42:43], s[36:37], v[154:155] op_sel:[0,0,1] op_sel_hi:[1,0,0] neg_lo:[0,0,1] neg_hi:[0,0,1]
	v_pk_fma_f32 v[154:155], v[42:43], s[36:37], v[154:155] op_sel:[0,0,1] op_sel_hi:[1,0,0]
	v_mov_b32_e32 v158, v152
	v_mov_b32_e32 v159, v155
	v_pk_add_f32 v[160:161], v[158:159], v[156:157]
	v_pk_mul_f32 v[158:159], v[40:41], s[48:49] op_sel_hi:[1,0]
	v_mov_b32_e32 v179, v175
	v_pk_fma_f32 v[156:157], v[38:39], s[4:5], v[158:159] op_sel:[0,0,1] op_sel_hi:[1,0,0] neg_lo:[0,0,1] neg_hi:[0,0,1]
	v_pk_fma_f32 v[158:159], v[38:39], s[4:5], v[158:159] op_sel:[0,0,1] op_sel_hi:[1,0,0]
	v_mov_b32_e32 v162, v156
	v_mov_b32_e32 v163, v159
	v_pk_add_f32 v[164:165], v[162:163], v[160:161]
	v_pk_mul_f32 v[162:163], v[36:37], s[28:29] op_sel_hi:[1,0]
	v_pk_mul_f32 v[208:209], v[58:59], s[44:45] op_sel_hi:[1,0]
	v_pk_fma_f32 v[160:161], v[32:33], s[18:19], v[162:163] op_sel:[0,0,1] op_sel_hi:[1,0,0] neg_lo:[0,0,1] neg_hi:[0,0,1]
	v_pk_fma_f32 v[162:163], v[32:33], s[18:19], v[162:163] op_sel:[0,0,1] op_sel_hi:[1,0,0]
	v_mov_b32_e32 v166, v160
	v_mov_b32_e32 v167, v163
	v_pk_add_f32 v[170:171], v[166:167], v[164:165]
	v_pk_mul_f32 v[166:167], v[78:79], s[26:27] op_sel_hi:[1,0]
	v_pk_fma_f32 v[210:211], v[54:55], s[8:9], v[208:209] op_sel:[0,0,1] op_sel_hi:[1,0,0] neg_lo:[0,0,1] neg_hi:[0,0,1]
	v_pk_fma_f32 v[164:165], v[68:69], s[24:25], v[166:167] op_sel:[0,0,1] op_sel_hi:[1,0,0] neg_lo:[0,0,1] neg_hi:[0,0,1]
	v_pk_fma_f32 v[166:167], v[68:69], s[24:25], v[166:167] op_sel:[0,0,1] op_sel_hi:[1,0,0]
	v_mov_b32_e32 v172, v164
	v_mov_b32_e32 v173, v167
	v_pk_add_f32 v[170:171], v[172:173], v[170:171]
	ds_write2_b64 v87, v[168:169], v[170:171] offset0:4 offset1:5
	v_pk_mul_f32 v[168:169], v[60:61], s[26:27] op_sel_hi:[1,0]
	v_pk_fma_f32 v[208:209], v[54:55], s[8:9], v[208:209] op_sel:[0,0,1] op_sel_hi:[1,0,0]
	v_pk_fma_f32 v[170:171], v[56:57], s[24:25], v[168:169] op_sel:[0,0,1] op_sel_hi:[1,0,0] neg_lo:[0,0,1] neg_hi:[0,0,1]
	v_pk_fma_f32 v[168:169], v[56:57], s[24:25], v[168:169] op_sel:[0,0,1] op_sel_hi:[1,0,0]
	v_mov_b32_e32 v172, v170
	v_mov_b32_e32 v173, v169
	v_pk_add_f32 v[172:173], v[172:173], v[0:1]
	v_mov_b32_e32 v214, v210
	v_pk_add_f32 v[172:173], v[178:179], v[172:173]
	v_pk_mul_f32 v[178:179], v[52:53], s[28:29] op_sel_hi:[1,0]
	v_mov_b32_e32 v215, v209
	v_pk_fma_f32 v[180:181], v[50:51], s[18:19], v[178:179] op_sel:[0,0,1] op_sel_hi:[1,0,0] neg_lo:[0,0,1] neg_hi:[0,0,1]
	v_pk_fma_f32 v[178:179], v[50:51], s[18:19], v[178:179] op_sel:[0,0,1] op_sel_hi:[1,0,0]
	v_mov_b32_e32 v182, v180
	v_mov_b32_e32 v183, v179
	v_pk_add_f32 v[172:173], v[182:183], v[172:173]
	v_pk_mul_f32 v[182:183], v[48:49], s[34:35] op_sel_hi:[1,0]
	v_pk_mul_f32 v[58:59], v[58:59], s[46:47] op_sel_hi:[1,0]
	v_pk_fma_f32 v[184:185], v[46:47], s[30:31], v[182:183] op_sel:[0,0,1] op_sel_hi:[1,0,0] neg_lo:[0,0,1] neg_hi:[0,0,1]
	v_pk_fma_f32 v[182:183], v[46:47], s[30:31], v[182:183] op_sel:[0,0,1] op_sel_hi:[1,0,0]
	v_mov_b32_e32 v186, v184
	v_mov_b32_e32 v187, v183
	v_pk_add_f32 v[172:173], v[186:187], v[172:173]
	v_pk_mul_f32 v[186:187], v[44:45], s[48:49] op_sel_hi:[1,0]
	v_mov_b32_e32 v169, v171
	v_pk_fma_f32 v[188:189], v[42:43], s[4:5], v[186:187] op_sel:[0,0,1] op_sel_hi:[1,0,0] neg_lo:[0,0,1] neg_hi:[0,0,1]
	v_pk_fma_f32 v[186:187], v[42:43], s[4:5], v[186:187] op_sel:[0,0,1] op_sel_hi:[1,0,0]
	v_mov_b32_e32 v190, v188
	v_mov_b32_e32 v191, v187
	v_pk_add_f32 v[172:173], v[190:191], v[172:173]
	v_pk_mul_f32 v[190:191], v[40:41], s[42:43] op_sel_hi:[1,0]
	v_mov_b32_e32 v209, v211
	;; [unrolled: 7-line block ×4, first 2 shown]
	v_pk_fma_f32 v[200:201], v[68:69], s[8:9], v[198:199] op_sel:[0,0,1] op_sel_hi:[1,0,0] neg_lo:[0,0,1] neg_hi:[0,0,1]
	v_pk_fma_f32 v[198:199], v[68:69], s[8:9], v[198:199] op_sel:[0,0,1] op_sel_hi:[1,0,0]
	v_mov_b32_e32 v202, v200
	v_mov_b32_e32 v203, v199
	v_pk_add_f32 v[172:173], v[202:203], v[172:173]
	v_pk_mul_f32 v[202:203], v[60:61], s[34:35] op_sel_hi:[1,0]
	v_pk_mul_f32 v[60:61], v[60:61], s[38:39] op_sel_hi:[1,0]
	v_pk_fma_f32 v[204:205], v[56:57], s[30:31], v[202:203] op_sel:[0,0,1] op_sel_hi:[1,0,0] neg_lo:[0,0,1] neg_hi:[0,0,1]
	v_pk_fma_f32 v[202:203], v[56:57], s[30:31], v[202:203] op_sel:[0,0,1] op_sel_hi:[1,0,0]
	v_mov_b32_e32 v206, v204
	v_mov_b32_e32 v207, v203
	v_pk_add_f32 v[206:207], v[206:207], v[0:1]
	v_mov_b32_e32 v203, v205
	v_pk_add_f32 v[206:207], v[214:215], v[206:207]
	v_pk_mul_f32 v[214:215], v[52:53], s[40:41] op_sel_hi:[1,0]
	v_pk_mul_f32 v[52:53], v[52:53], s[34:35] op_sel_hi:[1,0]
	v_pk_fma_f32 v[216:217], v[50:51], s[4:5], v[214:215] op_sel:[0,0,1] op_sel_hi:[1,0,0] neg_lo:[0,0,1] neg_hi:[0,0,1]
	v_pk_fma_f32 v[214:215], v[50:51], s[4:5], v[214:215] op_sel:[0,0,1] op_sel_hi:[1,0,0]
	v_mov_b32_e32 v218, v216
	v_mov_b32_e32 v219, v215
	v_pk_add_f32 v[206:207], v[218:219], v[206:207]
	v_pk_mul_f32 v[218:219], v[48:49], s[56:57] op_sel_hi:[1,0]
	v_pk_mul_f32 v[48:49], v[48:49], s[50:51] op_sel_hi:[1,0]
	v_pk_fma_f32 v[220:221], v[46:47], s[24:25], v[218:219] op_sel:[0,0,1] op_sel_hi:[1,0,0] neg_lo:[0,0,1] neg_hi:[0,0,1]
	v_pk_fma_f32 v[218:219], v[46:47], s[24:25], v[218:219] op_sel:[0,0,1] op_sel_hi:[1,0,0]
	v_mov_b32_e32 v222, v220
	;; [unrolled: 7-line block ×5, first 2 shown]
	v_mov_b32_e32 v235, v231
	v_pk_add_f32 v[206:207], v[234:235], v[206:207]
	v_pk_mul_f32 v[234:235], v[78:79], s[22:23] op_sel_hi:[1,0]
	v_mov_b32_e32 v215, v217
	v_pk_fma_f32 v[236:237], v[68:69], s[20:21], v[234:235] op_sel:[0,0,1] op_sel_hi:[1,0,0] neg_lo:[0,0,1] neg_hi:[0,0,1]
	v_pk_fma_f32 v[234:235], v[68:69], s[20:21], v[234:235] op_sel:[0,0,1] op_sel_hi:[1,0,0]
	v_mov_b32_e32 v238, v236
	v_mov_b32_e32 v239, v235
	v_pk_add_f32 v[206:207], v[238:239], v[206:207]
	ds_write2_b64 v87, v[172:173], v[206:207] offset0:6 offset1:7
	v_pk_fma_f32 v[172:173], v[56:57], s[36:37], v[60:61] op_sel:[0,0,1] op_sel_hi:[1,0,0] neg_lo:[0,0,1] neg_hi:[0,0,1]
	v_pk_fma_f32 v[56:57], v[56:57], s[36:37], v[60:61] op_sel:[0,0,1] op_sel_hi:[1,0,0]
	v_pk_fma_f32 v[60:61], v[54:55], s[18:19], v[58:59] op_sel:[0,0,1] op_sel_hi:[1,0,0] neg_lo:[0,0,1] neg_hi:[0,0,1]
	v_pk_fma_f32 v[54:55], v[54:55], s[18:19], v[58:59] op_sel:[0,0,1] op_sel_hi:[1,0,0]
	v_mov_b32_e32 v58, v172
	v_mov_b32_e32 v59, v57
	v_pk_add_f32 v[58:59], v[58:59], v[0:1]
	v_mov_b32_e32 v206, v60
	v_mov_b32_e32 v207, v55
	v_pk_add_f32 v[58:59], v[206:207], v[58:59]
	v_pk_fma_f32 v[206:207], v[50:51], s[30:31], v[52:53] op_sel:[0,0,1] op_sel_hi:[1,0,0] neg_lo:[0,0,1] neg_hi:[0,0,1]
	v_pk_fma_f32 v[50:51], v[50:51], s[30:31], v[52:53] op_sel:[0,0,1] op_sel_hi:[1,0,0]
	v_mov_b32_e32 v52, v206
	v_mov_b32_e32 v53, v51
	v_pk_add_f32 v[52:53], v[52:53], v[58:59]
	v_pk_fma_f32 v[58:59], v[46:47], s[10:11], v[48:49] op_sel:[0,0,1] op_sel_hi:[1,0,0] neg_lo:[0,0,1] neg_hi:[0,0,1]
	v_pk_fma_f32 v[46:47], v[46:47], s[10:11], v[48:49] op_sel:[0,0,1] op_sel_hi:[1,0,0]
	;; [unrolled: 5-line block ×3, first 2 shown]
	v_mov_b32_e32 v44, v52
	v_mov_b32_e32 v45, v43
	;; [unrolled: 1-line block ×3, first 2 shown]
	v_pk_add_f32 v[44:45], v[44:45], v[48:49]
	v_pk_fma_f32 v[48:49], v[38:39], s[8:9], v[40:41] op_sel:[0,0,1] op_sel_hi:[1,0,0] neg_lo:[0,0,1] neg_hi:[0,0,1]
	v_pk_fma_f32 v[38:39], v[38:39], s[8:9], v[40:41] op_sel:[0,0,1] op_sel_hi:[1,0,0]
	v_mov_b32_e32 v55, v61
	v_pk_add_f32 v[56:57], v[56:57], v[0:1]
	v_mov_b32_e32 v40, v48
	v_mov_b32_e32 v41, v39
	v_pk_add_f32 v[54:55], v[54:55], v[56:57]
	v_mov_b32_e32 v51, v207
	v_pk_add_f32 v[40:41], v[40:41], v[44:45]
	v_pk_fma_f32 v[44:45], v[32:33], s[20:21], v[36:37] op_sel:[0,0,1] op_sel_hi:[1,0,0] neg_lo:[0,0,1] neg_hi:[0,0,1]
	v_pk_fma_f32 v[32:33], v[32:33], s[20:21], v[36:37] op_sel:[0,0,1] op_sel_hi:[1,0,0]
	v_pk_add_f32 v[50:51], v[50:51], v[54:55]
	v_mov_b32_e32 v47, v59
	v_mov_b32_e32 v36, v44
	v_mov_b32_e32 v37, v33
	v_pk_add_f32 v[46:47], v[46:47], v[50:51]
	v_mov_b32_e32 v43, v53
	v_pk_add_f32 v[36:37], v[36:37], v[40:41]
	v_pk_mul_f32 v[40:41], v[78:79], s[48:49] op_sel_hi:[1,0]
	v_pk_add_f32 v[42:43], v[42:43], v[46:47]
	v_mov_b32_e32 v39, v49
	v_pk_fma_f32 v[78:79], v[68:69], s[4:5], v[40:41] op_sel:[0,0,1] op_sel_hi:[1,0,0] neg_lo:[0,0,1] neg_hi:[0,0,1]
	v_pk_fma_f32 v[40:41], v[68:69], s[4:5], v[40:41] op_sel:[0,0,1] op_sel_hi:[1,0,0]
	v_pk_add_f32 v[38:39], v[38:39], v[42:43]
	v_mov_b32_e32 v33, v45
	v_mov_b32_e32 v68, v78
	;; [unrolled: 1-line block ×3, first 2 shown]
	v_pk_add_f32 v[32:33], v[32:33], v[38:39]
	v_mov_b32_e32 v41, v79
	v_pk_add_f32 v[36:37], v[68:69], v[36:37]
	v_pk_add_f32 v[32:33], v[40:41], v[32:33]
	ds_write2_b64 v87, v[36:37], v[32:33] offset0:8 offset1:9
	v_pk_add_f32 v[32:33], v[202:203], v[0:1]
	v_pk_add_f32 v[36:37], v[168:169], v[0:1]
	;; [unrolled: 1-line block ×5, first 2 shown]
	v_mov_b32_e32 v219, v221
	v_pk_add_f32 v[36:37], v[178:179], v[36:37]
	v_mov_b32_e32 v183, v185
	v_pk_add_f32 v[32:33], v[218:219], v[32:33]
	;; [unrolled: 2-line block ×10, first 2 shown]
	v_pk_add_f32 v[36:37], v[198:199], v[36:37]
	v_mov_b32_e32 v89, v139
	v_mov_b32_e32 v107, v109
	ds_write2_b64 v87, v[32:33], v[36:37] offset0:10 offset1:11
	v_mov_b32_e32 v141, v143
	v_pk_add_f32 v[32:33], v[88:89], v[0:1]
	v_mov_b32_e32 v111, v113
	v_pk_add_f32 v[36:37], v[106:107], v[0:1]
	v_pk_add_f32 v[32:33], v[140:141], v[32:33]
	v_mov_b32_e32 v147, v145
	v_pk_add_f32 v[36:37], v[110:111], v[36:37]
	v_mov_b32_e32 v117, v115
	;; [unrolled: 2-line block ×12, first 2 shown]
	v_pk_add_f32 v[32:33], v[166:167], v[32:33]
	v_pk_add_f32 v[36:37], v[136:137], v[36:37]
	v_mov_b32_e32 v67, v63
	v_mov_b32_e32 v5, v3
	ds_write2_b64 v87, v[32:33], v[36:37] offset0:12 offset1:13
	v_pk_add_f32 v[32:33], v[66:67], v[0:1]
	v_mov_b32_e32 v73, v71
	v_pk_add_f32 v[0:1], v[4:5], v[0:1]
	v_mov_b32_e32 v9, v7
	;; [unrolled: 2-line block ×14, first 2 shown]
	v_mov_b32_e32 v99, v213
	v_pk_add_f32 v[32:33], v[104:105], v[32:33]
	v_pk_add_f32 v[0:1], v[34:35], v[0:1]
	ds_write2_b64 v87, v[32:33], v[0:1] offset0:14 offset1:15
	ds_write_b64 v87, v[64:65] offset:128
.LBB0_7:
	s_or_b64 exec, exec, s[0:1]
	s_mov_b64 s[0:1], 0x253
	v_lshl_add_u64 v[0:1], v[84:85], 0, s[0:1]
	s_mov_b64 s[0:1], 0x2ca
	v_lshl_add_u64 v[2:3], v[84:85], 0, s[0:1]
	s_mov_b64 s[0:1], 0x341
	s_load_dwordx4 s[8:11], s[2:3], 0x0
	v_lshl_add_u64 v[4:5], v[84:85], 0, s[0:1]
	s_mov_b32 s2, 0xf0f1
	v_mul_u32_u24_sdwa v5, v2, s2 dst_sel:DWORD dst_unused:UNUSED_PAD src0_sel:WORD_0 src1_sel:DWORD
	v_lshrrev_b32_e32 v6, 20, v5
	v_mul_u32_u24_sdwa v13, v4, s2 dst_sel:DWORD dst_unused:UNUSED_PAD src0_sel:WORD_0 src1_sel:DWORD
	v_mul_lo_u16_e32 v1, 17, v6
	v_lshrrev_b32_e32 v10, 20, v13
	s_mov_b64 s[0:1], 0x1dc
	v_sub_u16_e32 v7, v2, v1
	v_mul_lo_u16_e32 v3, 17, v10
	v_lshl_add_u64 v[30:31], v[84:85], 0, s[0:1]
	s_mov_b64 s[0:1], 0x165
	v_lshlrev_b32_e32 v1, 3, v7
	v_sub_u16_e32 v11, v4, v3
	v_lshl_add_u64 v[32:33], v[84:85], 0, s[0:1]
	s_waitcnt lgkmcnt(0)
	s_barrier
	v_lshlrev_b32_e32 v3, 3, v11
	global_load_dwordx2 v[126:127], v1, s[14:15]
	global_load_dwordx2 v[242:243], v3, s[14:15]
	v_mul_u32_u24_sdwa v48, v0, s2 dst_sel:DWORD dst_unused:UNUSED_PAD src0_sel:WORD_0 src1_sel:DWORD
	v_mul_u32_u24_sdwa v33, v32, s2 dst_sel:DWORD dst_unused:UNUSED_PAD src0_sel:WORD_0 src1_sel:DWORD
	v_lshrrev_b32_e32 v8, 20, v48
	v_lshrrev_b32_e32 v17, 20, v33
	v_mul_lo_u16_e32 v1, 17, v8
	v_mul_lo_u16_e32 v18, 17, v17
	v_sub_u16_e32 v9, v0, v1
	v_mul_u32_u24_sdwa v31, v30, s2 dst_sel:DWORD dst_unused:UNUSED_PAD src0_sel:WORD_0 src1_sel:DWORD
	v_sub_u16_e32 v18, v32, v18
	v_lshlrev_b32_e32 v1, 3, v9
	v_lshrrev_b32_e32 v14, 20, v31
	v_lshlrev_b32_e32 v19, 3, v18
	global_load_dwordx2 v[122:123], v1, s[14:15]
	global_load_dwordx2 v[120:121], v19, s[14:15]
	v_mul_lo_u16_e32 v1, 17, v14
	v_sub_u16_e32 v15, v30, v1
	v_lshlrev_b32_e32 v1, 3, v15
	global_load_dwordx2 v[124:125], v1, s[14:15]
	v_add_u16_e32 v1, 0xee, v84
	v_mul_u32_u24_e32 v3, 0xf0f1, v1
	v_lshrrev_b32_e32 v16, 20, v3
	v_mul_lo_u16_e32 v12, 17, v16
	v_sub_u16_e32 v19, v1, v12
	v_lshlrev_b32_e32 v12, 3, v19
	global_load_dwordx2 v[118:119], v12, s[14:15]
	s_movk_i32 s0, 0xf1
	v_add_u16_e32 v12, 0x77, v84
	v_mul_lo_u16_sdwa v49, v12, s0 dst_sel:DWORD dst_unused:UNUSED_PAD src0_sel:BYTE_0 src1_sel:DWORD
	v_lshrrev_b16_e32 v20, 12, v49
	v_mul_lo_u16_e32 v21, 17, v20
	v_sub_u16_e32 v21, v12, v21
	v_and_b32_e32 v21, 0xff, v21
	v_lshlrev_b32_e32 v22, 3, v21
	v_mul_lo_u16_sdwa v50, v84, s0 dst_sel:DWORD dst_unused:UNUSED_PAD src0_sel:BYTE_0 src1_sel:DWORD
	global_load_dwordx2 v[116:117], v22, s[14:15]
	v_lshrrev_b16_e32 v22, 12, v50
	v_mul_lo_u16_e32 v23, 17, v22
	v_sub_u16_e32 v23, v84, v23
	v_and_b32_e32 v23, 0xff, v23
	v_lshlrev_b32_e32 v24, 3, v23
	global_load_dwordx2 v[114:115], v24, s[14:15]
	v_mov_b32_e32 v24, 3
	v_lshlrev_b32_sdwa v85, v24, v84 dst_sel:DWORD dst_unused:UNUSED_PAD src0_sel:DWORD src1_sel:WORD_0
	v_mad_legacy_u16 v8, v8, 34, v9
	v_mad_legacy_u16 v6, v6, 34, v7
	v_add_u32_e32 v70, 0x3000, v85
	v_lshlrev_b32_e32 v105, 3, v8
	v_lshlrev_b32_e32 v112, 3, v6
	ds_read2_b64 v[6:9], v70 offset0:130 offset1:249
	v_mad_legacy_u16 v16, v16, 34, v19
	v_lshlrev_b32_e32 v102, 3, v16
	v_mad_legacy_u16 v16, v17, 34, v18
	v_mad_legacy_u16 v14, v14, 34, v15
	v_add_u32_e32 v51, 0x1400, v85
	v_lshlrev_b32_e32 v103, 3, v16
	v_lshlrev_b32_e32 v104, 3, v14
	ds_read2_b64 v[14:17], v51 offset0:74 offset1:193
	v_mad_legacy_u16 v10, v10, 34, v11
	v_lshlrev_b32_e32 v113, 3, v10
	v_add_u32_e32 v52, 0x2c00, v85
	v_mul_u32_u24_e32 v20, 34, v20
	v_add_u32_e32 v53, 0xc00, v85
	v_add_lshl_u32 v101, v20, v21, 3
	v_mul_lo_u16_e32 v22, 34, v22
	v_and_b32_e32 v22, 0xfe, v22
	v_add_lshl_u32 v100, v22, v23, 3
	v_add_u32_e32 v54, 0x2400, v85
	v_add_u32_e32 v55, 0x400, v85
	;; [unrolled: 1-line block ×3, first 2 shown]
	v_lshrrev_b32_e32 v13, 21, v13
	s_movk_i32 s18, 0x44
	v_cmp_lt_u16_e64 s[4:5], 33, v84
	v_cmp_gt_u16_e64 s[2:3], 34, v84
                                        ; implicit-def: $vgpr78
                                        ; implicit-def: $vgpr72
                                        ; implicit-def: $vgpr80
                                        ; implicit-def: $vgpr74
                                        ; implicit-def: $vgpr82
                                        ; implicit-def: $vgpr76
                                        ; implicit-def: $vgpr88
	s_waitcnt vmcnt(6) lgkmcnt(1)
	v_pk_mul_f32 v[10:11], v[8:9], v[242:243] op_sel:[0,1]
	s_nop 0
	v_pk_fma_f32 v[18:19], v[8:9], v[242:243], v[10:11] op_sel:[0,0,1] op_sel_hi:[1,1,0] neg_lo:[0,0,1] neg_hi:[0,0,1]
	v_pk_fma_f32 v[8:9], v[8:9], v[242:243], v[10:11] op_sel:[0,0,1] op_sel_hi:[1,0,0]
	s_nop 0
	v_mov_b32_e32 v19, v9
	v_pk_mul_f32 v[8:9], v[6:7], v[126:127] op_sel:[0,1]
	s_waitcnt lgkmcnt(0)
	v_pk_add_f32 v[34:35], v[16:17], v[18:19] neg_lo:[0,1] neg_hi:[0,1]
	v_pk_fma_f32 v[10:11], v[6:7], v[126:127], v[8:9] op_sel:[0,0,1] op_sel_hi:[1,1,0] neg_lo:[0,0,1] neg_hi:[0,0,1]
	v_pk_fma_f32 v[18:19], v[6:7], v[126:127], v[8:9] op_sel:[0,0,1] op_sel_hi:[1,0,0]
	ds_read2_b64 v[6:9], v52 offset0:20 offset1:139
	v_mov_b32_e32 v11, v19
	ds_read2_b64 v[18:21], v53 offset0:92 offset1:211
	v_pk_add_f32 v[36:37], v[14:15], v[10:11] neg_lo:[0,1] neg_hi:[0,1]
	s_waitcnt vmcnt(5) lgkmcnt(1)
	v_pk_mul_f32 v[10:11], v[8:9], v[122:123] op_sel:[0,1]
	s_nop 0
	v_pk_fma_f32 v[22:23], v[8:9], v[122:123], v[10:11] op_sel:[0,0,1] op_sel_hi:[1,1,0] neg_lo:[0,0,1] neg_hi:[0,0,1]
	v_pk_fma_f32 v[8:9], v[8:9], v[122:123], v[10:11] op_sel:[0,0,1] op_sel_hi:[1,0,0]
	s_nop 0
	v_mov_b32_e32 v23, v9
	s_waitcnt vmcnt(3)
	v_pk_mul_f32 v[8:9], v[6:7], v[124:125] op_sel:[0,1]
	s_waitcnt lgkmcnt(0)
	v_pk_add_f32 v[38:39], v[20:21], v[22:23] neg_lo:[0,1] neg_hi:[0,1]
	v_pk_fma_f32 v[10:11], v[6:7], v[124:125], v[8:9] op_sel:[0,0,1] op_sel_hi:[1,1,0] neg_lo:[0,0,1] neg_hi:[0,0,1]
	v_pk_fma_f32 v[22:23], v[6:7], v[124:125], v[8:9] op_sel:[0,0,1] op_sel_hi:[1,0,0]
	ds_read2_b64 v[6:9], v54 offset0:38 offset1:157
	v_mov_b32_e32 v11, v23
	ds_read2_b64 v[22:25], v55 offset0:110 offset1:229
	v_pk_add_f32 v[40:41], v[18:19], v[10:11] neg_lo:[0,1] neg_hi:[0,1]
	s_waitcnt lgkmcnt(1)
	v_pk_mul_f32 v[10:11], v[8:9], v[120:121] op_sel:[0,1]
	s_nop 0
	v_pk_fma_f32 v[26:27], v[8:9], v[120:121], v[10:11] op_sel:[0,0,1] op_sel_hi:[1,1,0] neg_lo:[0,0,1] neg_hi:[0,0,1]
	v_pk_fma_f32 v[8:9], v[8:9], v[120:121], v[10:11] op_sel:[0,0,1] op_sel_hi:[1,0,0]
	s_nop 0
	v_mov_b32_e32 v27, v9
	s_waitcnt lgkmcnt(0)
	v_pk_add_f32 v[42:43], v[24:25], v[26:27] neg_lo:[0,1] neg_hi:[0,1]
	s_waitcnt vmcnt(2)
	v_pk_mul_f32 v[26:27], v[6:7], v[118:119] op_sel:[0,1]
	ds_read2_b64 v[8:11], v56 offset0:56 offset1:175
	v_pk_fma_f32 v[28:29], v[6:7], v[118:119], v[26:27] op_sel:[0,0,1] op_sel_hi:[1,1,0] neg_lo:[0,0,1] neg_hi:[0,0,1]
	v_pk_fma_f32 v[6:7], v[6:7], v[118:119], v[26:27] op_sel:[0,0,1] op_sel_hi:[1,0,0]
	s_waitcnt vmcnt(1) lgkmcnt(0)
	v_pk_mul_f32 v[44:45], v[10:11], v[116:117] op_sel:[0,1]
	v_mov_b32_e32 v29, v7
	v_pk_add_f32 v[6:7], v[22:23], v[28:29] neg_lo:[0,1] neg_hi:[0,1]
	ds_read2_b64 v[26:29], v85 offset1:119
	v_pk_fma_f32 v[46:47], v[10:11], v[116:117], v[44:45] op_sel:[0,0,1] op_sel_hi:[1,1,0] neg_lo:[0,0,1] neg_hi:[0,0,1]
	v_pk_fma_f32 v[10:11], v[10:11], v[116:117], v[44:45] op_sel:[0,0,1] op_sel_hi:[1,0,0]
	s_waitcnt vmcnt(0)
	v_pk_mul_f32 v[44:45], v[8:9], v[114:115] op_sel:[0,1]
	v_mov_b32_e32 v47, v11
	s_waitcnt lgkmcnt(0)
	v_pk_add_f32 v[10:11], v[28:29], v[46:47] neg_lo:[0,1] neg_hi:[0,1]
	v_pk_fma_f32 v[46:47], v[8:9], v[114:115], v[44:45] op_sel:[0,0,1] op_sel_hi:[1,1,0] neg_lo:[0,0,1] neg_hi:[0,0,1]
	v_pk_fma_f32 v[8:9], v[8:9], v[114:115], v[44:45] op_sel:[0,0,1] op_sel_hi:[1,0,0]
	v_pk_fma_f32 v[28:29], v[28:29], 2.0, v[10:11] op_sel_hi:[1,0,1] neg_lo:[0,0,1] neg_hi:[0,0,1]
	v_mov_b32_e32 v47, v9
	v_pk_add_f32 v[8:9], v[26:27], v[46:47] neg_lo:[0,1] neg_hi:[0,1]
	s_nop 0
	v_pk_fma_f32 v[26:27], v[26:27], 2.0, v[8:9] op_sel_hi:[1,0,1] neg_lo:[0,0,1] neg_hi:[0,0,1]
	s_barrier
	ds_write2_b64 v100, v[26:27], v[8:9] offset1:17
	ds_write2_b64 v101, v[28:29], v[10:11] offset1:17
	v_pk_fma_f32 v[8:9], v[22:23], 2.0, v[6:7] op_sel_hi:[1,0,1] neg_lo:[0,0,1] neg_hi:[0,0,1]
	ds_write2_b64 v102, v[8:9], v[6:7] offset1:17
	v_pk_fma_f32 v[6:7], v[24:25], 2.0, v[42:43] op_sel_hi:[1,0,1] neg_lo:[0,0,1] neg_hi:[0,0,1]
	;; [unrolled: 2-line block ×6, first 2 shown]
	ds_write2_b64 v113, v[6:7], v[34:35] offset1:17
	v_mul_lo_u16_e32 v6, 34, v13
	v_sub_u16_e32 v38, v4, v6
	v_lshlrev_b32_e32 v4, 3, v38
	s_waitcnt lgkmcnt(0)
	s_barrier
	global_load_dwordx2 v[206:207], v4, s[14:15] offset:136
	v_lshrrev_b32_e32 v18, 21, v5
	v_mul_lo_u16_e32 v4, 34, v18
	v_sub_u16_e32 v2, v2, v4
	v_lshlrev_b32_e32 v4, 3, v2
	global_load_dwordx2 v[204:205], v4, s[14:15] offset:136
	v_lshrrev_b32_e32 v19, 21, v48
	v_mul_lo_u16_e32 v4, 34, v19
	v_sub_u16_e32 v0, v0, v4
	v_lshlrev_b32_e32 v4, 3, v0
	v_lshrrev_b32_e32 v20, 21, v31
	global_load_dwordx2 v[202:203], v4, s[14:15] offset:136
	v_mul_lo_u16_e32 v4, 34, v20
	v_sub_u16_e32 v21, v30, v4
	v_lshlrev_b32_e32 v4, 3, v21
	global_load_dwordx2 v[200:201], v4, s[14:15] offset:136
	v_lshrrev_b32_e32 v22, 21, v33
	v_mul_lo_u16_e32 v4, 34, v22
	v_sub_u16_e32 v23, v32, v4
	v_lshlrev_b32_e32 v4, 3, v23
	v_lshrrev_b32_e32 v24, 21, v3
	global_load_dwordx2 v[198:199], v4, s[14:15] offset:136
	v_mul_lo_u16_e32 v4, 34, v24
	v_sub_u16_e32 v25, v1, v4
	v_lshlrev_b32_e32 v4, 3, v25
	v_lshrrev_b16_e32 v26, 13, v49
	global_load_dwordx2 v[196:197], v4, s[14:15] offset:136
	v_mul_lo_u16_e32 v4, 34, v26
	v_sub_u16_e32 v4, v12, v4
	v_and_b32_e32 v27, 0xff, v4
	v_lshlrev_b32_e32 v4, 3, v27
	v_lshrrev_b16_e32 v28, 13, v50
	global_load_dwordx2 v[96:97], v4, s[14:15] offset:136
	v_mul_lo_u16_e32 v4, 34, v28
	v_sub_u16_e32 v4, v84, v4
	v_and_b32_e32 v29, 0xff, v4
	v_lshlrev_b32_e32 v4, 3, v29
	global_load_dwordx2 v[94:95], v4, s[14:15] offset:136
	ds_read2_b64 v[4:7], v70 offset0:130 offset1:249
	ds_read2_b64 v[8:11], v51 offset0:74 offset1:193
	v_mad_legacy_u16 v0, v19, s18, v0
	v_lshlrev_b32_e32 v43, 3, v0
	v_mad_legacy_u16 v0, v18, s18, v2
	v_lshlrev_b32_e32 v0, 3, v0
	v_accvgpr_write_b32 a37, v0
	v_accvgpr_write_b32 a36, v43
	s_waitcnt vmcnt(7) lgkmcnt(1)
	v_pk_mul_f32 v[14:15], v[6:7], v[206:207] op_sel:[0,1]
	s_nop 0
	v_pk_fma_f32 v[16:17], v[6:7], v[206:207], v[14:15] op_sel:[0,0,1] op_sel_hi:[1,1,0] neg_lo:[0,0,1] neg_hi:[0,0,1]
	v_pk_fma_f32 v[6:7], v[6:7], v[206:207], v[14:15] op_sel:[0,0,1] op_sel_hi:[1,0,0]
	s_nop 0
	v_mul_lo_u16_e32 v6, 0x44, v28
	v_and_b32_e32 v6, 0xfc, v6
	v_add_lshl_u32 v213, v6, v29, 3
	v_mul_u32_u24_e32 v6, 0x44, v26
	v_add_lshl_u32 v39, v6, v27, 3
	v_mad_legacy_u16 v6, v24, s18, v25
	v_mov_b32_e32 v17, v7
	v_lshlrev_b32_e32 v40, 3, v6
	v_mad_legacy_u16 v6, v22, s18, v23
	s_waitcnt lgkmcnt(0)
	v_pk_add_f32 v[68:69], v[10:11], v[16:17] neg_lo:[0,1] neg_hi:[0,1]
	v_lshlrev_b32_e32 v41, 3, v6
	v_mad_legacy_u16 v6, v20, s18, v21
	ds_read2_b64 v[14:17], v52 offset0:20 offset1:139
	v_lshlrev_b32_e32 v42, 3, v6
	s_waitcnt vmcnt(6)
	v_pk_mul_f32 v[6:7], v[4:5], v[204:205] op_sel:[0,1]
	v_pk_fma_f32 v[66:67], v[10:11], 2.0, v[68:69] op_sel_hi:[1,0,1] neg_lo:[0,0,1] neg_hi:[0,0,1]
	v_pk_fma_f32 v[10:11], v[4:5], v[204:205], v[6:7] op_sel:[0,0,1] op_sel_hi:[1,1,0] neg_lo:[0,0,1] neg_hi:[0,0,1]
	v_pk_fma_f32 v[4:5], v[4:5], v[204:205], v[6:7] op_sel:[0,0,1] op_sel_hi:[1,0,0]
	s_waitcnt vmcnt(5) lgkmcnt(0)
	v_pk_mul_f32 v[18:19], v[16:17], v[202:203] op_sel:[0,1]
	v_mov_b32_e32 v11, v5
	ds_read2_b64 v[4:7], v53 offset0:92 offset1:211
	v_pk_fma_f32 v[20:21], v[16:17], v[202:203], v[18:19] op_sel:[0,0,1] op_sel_hi:[1,1,0] neg_lo:[0,0,1] neg_hi:[0,0,1]
	v_pk_fma_f32 v[16:17], v[16:17], v[202:203], v[18:19] op_sel:[0,0,1] op_sel_hi:[1,0,0]
	v_pk_add_f32 v[10:11], v[8:9], v[10:11] neg_lo:[0,1] neg_hi:[0,1]
	v_mov_b32_e32 v21, v17
	s_waitcnt lgkmcnt(0)
	v_pk_add_f32 v[28:29], v[6:7], v[20:21] neg_lo:[0,1] neg_hi:[0,1]
	s_waitcnt vmcnt(4)
	v_pk_mul_f32 v[20:21], v[14:15], v[200:201] op_sel:[0,1]
	ds_read2_b64 v[16:19], v54 offset0:38 offset1:157
	v_pk_fma_f32 v[22:23], v[14:15], v[200:201], v[20:21] op_sel:[0,0,1] op_sel_hi:[1,1,0] neg_lo:[0,0,1] neg_hi:[0,0,1]
	v_pk_fma_f32 v[14:15], v[14:15], v[200:201], v[20:21] op_sel:[0,0,1] op_sel_hi:[1,0,0]
	v_accvgpr_write_b32 a33, v40
	v_mov_b32_e32 v23, v15
	v_pk_add_f32 v[30:31], v[4:5], v[22:23] neg_lo:[0,1] neg_hi:[0,1]
	ds_read2_b64 v[20:23], v55 offset0:110 offset1:229
	s_waitcnt vmcnt(3) lgkmcnt(1)
	v_pk_mul_f32 v[14:15], v[18:19], v[198:199] op_sel:[0,1]
	v_pk_fma_f32 v[4:5], v[4:5], 2.0, v[30:31] op_sel_hi:[1,0,1] neg_lo:[0,0,1] neg_hi:[0,0,1]
	v_pk_fma_f32 v[24:25], v[18:19], v[198:199], v[14:15] op_sel:[0,0,1] op_sel_hi:[1,1,0] neg_lo:[0,0,1] neg_hi:[0,0,1]
	v_pk_fma_f32 v[14:15], v[18:19], v[198:199], v[14:15] op_sel:[0,0,1] op_sel_hi:[1,0,0]
	v_accvgpr_write_b32 a34, v41
	v_mov_b32_e32 v25, v15
	s_waitcnt lgkmcnt(0)
	v_pk_add_f32 v[18:19], v[22:23], v[24:25] neg_lo:[0,1] neg_hi:[0,1]
	ds_read2_b64 v[24:27], v56 offset0:56 offset1:175
	s_waitcnt vmcnt(2)
	v_pk_mul_f32 v[14:15], v[16:17], v[196:197] op_sel:[0,1]
	v_accvgpr_write_b32 a35, v42
	v_pk_fma_f32 v[32:33], v[16:17], v[196:197], v[14:15] op_sel:[0,0,1] op_sel_hi:[1,1,0] neg_lo:[0,0,1] neg_hi:[0,0,1]
	v_pk_fma_f32 v[14:15], v[16:17], v[196:197], v[14:15] op_sel:[0,0,1] op_sel_hi:[1,0,0]
	s_waitcnt vmcnt(1) lgkmcnt(0)
	v_pk_mul_f32 v[34:35], v[26:27], v[96:97] op_sel:[0,1]
	v_mov_b32_e32 v33, v15
	ds_read2_b64 v[14:17], v85 offset1:119
	v_pk_fma_f32 v[36:37], v[26:27], v[96:97], v[34:35] op_sel:[0,0,1] op_sel_hi:[1,1,0] neg_lo:[0,0,1] neg_hi:[0,0,1]
	v_pk_fma_f32 v[26:27], v[26:27], v[96:97], v[34:35] op_sel:[0,0,1] op_sel_hi:[1,0,0]
	s_waitcnt vmcnt(0)
	v_pk_mul_f32 v[34:35], v[24:25], v[94:95] op_sel:[0,1]
	v_mov_b32_e32 v37, v27
	s_waitcnt lgkmcnt(0)
	v_pk_add_f32 v[26:27], v[16:17], v[36:37] neg_lo:[0,1] neg_hi:[0,1]
	v_pk_fma_f32 v[36:37], v[24:25], v[94:95], v[34:35] op_sel:[0,0,1] op_sel_hi:[1,1,0] neg_lo:[0,0,1] neg_hi:[0,0,1]
	v_pk_fma_f32 v[24:25], v[24:25], v[94:95], v[34:35] op_sel:[0,0,1] op_sel_hi:[1,0,0]
	v_pk_add_f32 v[32:33], v[20:21], v[32:33] neg_lo:[0,1] neg_hi:[0,1]
	v_mov_b32_e32 v37, v25
	v_pk_add_f32 v[24:25], v[14:15], v[36:37] neg_lo:[0,1] neg_hi:[0,1]
	v_pk_fma_f32 v[16:17], v[16:17], 2.0, v[26:27] op_sel_hi:[1,0,1] neg_lo:[0,0,1] neg_hi:[0,0,1]
	v_pk_fma_f32 v[14:15], v[14:15], 2.0, v[24:25] op_sel_hi:[1,0,1] neg_lo:[0,0,1] neg_hi:[0,0,1]
	s_barrier
	ds_write2_b64 v213, v[14:15], v[24:25] offset1:34
	v_pk_fma_f32 v[14:15], v[20:21], 2.0, v[32:33] op_sel_hi:[1,0,1] neg_lo:[0,0,1] neg_hi:[0,0,1]
	ds_write2_b64 v39, v[16:17], v[26:27] offset1:34
	ds_write2_b64 v40, v[14:15], v[32:33] offset1:34
	v_pk_fma_f32 v[14:15], v[22:23], 2.0, v[18:19] op_sel_hi:[1,0,1] neg_lo:[0,0,1] neg_hi:[0,0,1]
	ds_write2_b64 v41, v[14:15], v[18:19] offset1:34
	;; [unrolled: 3-line block ×3, first 2 shown]
	v_pk_fma_f32 v[4:5], v[8:9], 2.0, v[10:11] op_sel_hi:[1,0,1] neg_lo:[0,0,1] neg_hi:[0,0,1]
	ds_write2_b64 v0, v[4:5], v[10:11] offset1:34
	v_mad_legacy_u16 v0, v13, s18, v38
	v_lshlrev_b32_e32 v0, 3, v0
	v_accvgpr_write_b32 a50, v0
	ds_write2_b64 v0, v[66:67], v[68:69] offset1:34
	v_add_u32_e32 v0, 0x1000, v85
	s_waitcnt lgkmcnt(0)
	s_barrier
	ds_read2_b64 v[52:55], v0 offset0:32 offset1:151
	v_add_u32_e32 v0, 0x1800, v85
	ds_read2_b64 v[40:43], v0 offset0:48 offset1:167
	v_add_u32_e32 v0, 0x2000, v85
	;; [unrolled: 2-line block ×4, first 2 shown]
	v_accvgpr_write_b32 a32, v39
	ds_read2_b64 v[36:39], v85 offset1:119
	ds_read2_b64 v[60:63], v0 offset0:16 offset1:135
	ds_read2_b64 v[44:47], v70 offset0:96 offset1:215
                                        ; implicit-def: $vgpr70
	s_and_saveexec_b64 s[0:1], s[2:3]
	s_cbranch_execz .LBB0_9
; %bb.8:
	ds_read_b64 v[70:71], v85 offset:8432
	ds_read_b64 v[76:77], v85 offset:10608
	;; [unrolled: 1-line block ×7, first 2 shown]
	s_waitcnt lgkmcnt(6)
	v_mov_b32_e32 v78, v71
	s_waitcnt lgkmcnt(4)
	v_mov_b32_e32 v80, v73
	;; [unrolled: 2-line block ×3, first 2 shown]
	v_mov_b32_e32 v88, v77
.LBB0_9:
	s_or_b64 exec, exec, s[0:1]
	v_add_u32_e32 v0, 0xffffffbc, v84
	v_cmp_gt_u16_e32 vcc, s18, v84
	s_movk_i32 s0, 0x79
	s_waitcnt lgkmcnt(0)
	v_mov_b32_e32 v106, v65
	v_cndmask_b32_e32 v6, v0, v84, vcc
	v_mul_hi_i32_i24_e32 v5, 48, v6
	v_mul_i32_i24_e32 v4, 48, v6
	v_lshl_add_u64 v[4:5], s[14:15], 0, v[4:5]
	v_lshrrev_b32_e32 v0, 22, v3
	global_load_dwordx4 v[20:23], v[4:5], off offset:440
	global_load_dwordx4 v[28:31], v[4:5], off offset:424
	;; [unrolled: 1-line block ×3, first 2 shown]
	v_mul_lo_u16_e32 v0, 0x44, v0
	v_mul_lo_u16_sdwa v4, v12, s0 dst_sel:DWORD dst_unused:UNUSED_PAD src0_sel:BYTE_0 src1_sel:DWORD
	v_sub_u16_e32 v83, v1, v0
	v_lshrrev_b16_e32 v4, 13, v4
	v_mul_lo_u16_e32 v0, 48, v83
	v_mov_b32_e32 v1, 0
	v_mul_lo_u16_e32 v5, 0x44, v4
	v_lshl_add_u64 v[14:15], s[14:15], 0, v[0:1]
	v_sub_u16_e32 v5, v12, v5
	global_load_dwordx4 v[246:249], v[14:15], off offset:408
	global_load_dwordx4 v[0:3], v[14:15], off offset:424
	global_load_dwordx4 v[8:11], v[14:15], off offset:440
	v_and_b32_e32 v5, 0xff, v5
	v_mad_u64_u32 v[12:13], s[0:1], v5, 48, s[14:15]
	global_load_dwordx4 v[32:35], v[12:13], off offset:424
	global_load_dwordx4 v[16:19], v[12:13], off offset:408
	s_nop 0
	global_load_dwordx4 v[12:15], v[12:13], off offset:440
	s_mov_b32 s24, 0x3f5ff5aa
	s_mov_b32 s28, 0x3d64c772
	;; [unrolled: 1-line block ×8, first 2 shown]
	s_barrier
	v_mul_u32_u24_e32 v4, 0x1dc, v4
	v_add_lshl_u32 v5, v4, v5, 3
	v_add_u32_e32 v4, 0x800, v5
	v_accvgpr_write_b32 a51, v5
	s_waitcnt vmcnt(8)
	v_mul_f32_e32 v65, v49, v21
	s_waitcnt vmcnt(7)
	v_mul_f32_e32 v89, v57, v30
	v_fma_f32 v130, v48, v20, -v65
	v_mul_f32_e32 v133, v56, v31
	s_waitcnt vmcnt(6)
	v_mul_f32_e32 v7, v53, v27
	v_fma_f32 v128, v52, v26, -v7
	v_mul_f32_e32 v129, v41, v28
	v_mul_f32_e32 v131, v40, v29
	s_waitcnt vmcnt(5)
	v_pk_mul_f32 v[108:109], v[68:69], v[246:247] op_sel:[1,0]
	v_pk_mul_f32 v[106:107], v[106:107], v[248:249] op_sel_hi:[0,1]
	s_waitcnt vmcnt(3)
	v_pk_mul_f32 v[80:81], v[80:81], v[8:9] op_sel_hi:[0,1]
	v_pk_mul_f32 v[134:135], v[82:83], v[10:11] op_sel_hi:[0,1]
	;; [unrolled: 1-line block ×4, first 2 shown]
	v_pk_fma_f32 v[136:137], v[68:69], v[246:247], v[108:109] op_sel:[0,0,1] op_sel_hi:[1,1,0] neg_lo:[0,0,1] neg_hi:[0,0,1]
	v_pk_fma_f32 v[68:69], v[68:69], v[246:247], v[108:109] op_sel:[0,0,1] op_sel_hi:[0,1,0]
	v_pk_fma_f32 v[108:109], v[64:65], v[248:249], v[106:107] op_sel:[0,0,1] op_sel_hi:[1,1,0] neg_lo:[0,0,1] neg_hi:[0,0,1]
	v_pk_fma_f32 v[64:65], v[64:65], v[248:249], v[106:107] op_sel:[0,0,1] op_sel_hi:[0,1,0]
	;; [unrolled: 2-line block ×6, first 2 shown]
	s_waitcnt vmcnt(0)
	v_mul_f32_e32 v64, v51, v13
	v_mov_b32_e32 v137, v69
	v_mov_b32_e32 v109, v65
	;; [unrolled: 1-line block ×6, first 2 shown]
	v_fma_f32 v74, v50, v12, -v64
	v_pk_add_f32 v[64:65], v[136:137], v[142:143]
	v_pk_add_f32 v[70:71], v[108:109], v[140:141]
	v_pk_add_f32 v[72:73], v[108:109], v[140:141] neg_lo:[0,1] neg_hi:[0,1]
	v_pk_add_f32 v[108:109], v[106:107], v[138:139]
	v_pk_add_f32 v[110:111], v[70:71], v[64:65]
	v_pk_add_f32 v[68:69], v[136:137], v[142:143] neg_lo:[0,1] neg_hi:[0,1]
	v_pk_add_f32 v[106:107], v[138:139], v[106:107] neg_lo:[0,1] neg_hi:[0,1]
	v_mov_b32_e32 v143, v109
	v_mov_b32_e32 v142, v110
	;; [unrolled: 1-line block ×3, first 2 shown]
	v_pk_add_f32 v[134:135], v[70:71], v[64:65] neg_lo:[0,1] neg_hi:[0,1]
	v_pk_add_f32 v[136:137], v[64:65], v[108:109] neg_lo:[0,1] neg_hi:[0,1]
	v_pk_add_f32 v[64:65], v[106:107], v[72:73] op_sel:[1,1] op_sel_hi:[0,0]
	v_pk_add_f32 v[140:141], v[72:73], v[68:69] op_sel:[1,1] op_sel_hi:[0,0] neg_lo:[0,1] neg_hi:[0,1]
	v_pk_add_f32 v[110:111], v[142:143], v[110:111]
	v_pk_add_f32 v[70:71], v[108:109], v[70:71] neg_lo:[0,1] neg_hi:[0,1]
	v_pk_add_f32 v[72:73], v[106:107], v[72:73] op_sel:[1,1] op_sel_hi:[0,0] neg_lo:[0,1] neg_hi:[0,1]
	v_pk_add_f32 v[138:139], v[68:69], v[106:107] op_sel:[1,1] op_sel_hi:[0,0] neg_lo:[0,1] neg_hi:[0,1]
	v_pk_add_f32 v[144:145], v[64:65], v[68:69] op_sel:[0,1] op_sel_hi:[1,0]
	v_pk_add_f32 v[64:65], v[66:67], v[110:111]
	v_pk_mul_f32 v[66:67], v[140:141], s[24:25] op_sel_hi:[1,0]
	v_pk_mul_f32 v[70:71], v[70:71], s[28:29] op_sel_hi:[1,0]
	;; [unrolled: 1-line block ×4, first 2 shown]
	v_pk_fma_f32 v[108:109], v[136:137], s[22:23], v[70:71] op_sel_hi:[1,0,1]
	v_pk_fma_f32 v[70:71], v[134:135], s[18:19], v[70:71] op_sel_hi:[1,0,1] neg_lo:[0,0,1] neg_hi:[0,0,1]
	v_pk_fma_f32 v[106:107], v[140:141], s[24:25], v[72:73] op_sel_hi:[1,0,1] neg_lo:[0,0,1] neg_hi:[0,0,1]
	v_pk_fma_f32 v[72:73], v[138:139], s[26:27], v[72:73] op_sel_hi:[1,0,1]
	v_pk_fma_f32 v[138:139], v[138:139], s[26:27], v[66:67] op_sel_hi:[1,0,1] neg_lo:[1,0,1] neg_hi:[1,0,1]
	v_pk_mul_f32 v[142:143], v[144:145], s[0:1] op_sel_hi:[1,0]
	v_pk_fma_f32 v[110:111], v[110:111], s[20:21], v[64:65] op_sel_hi:[1,0,1] neg_lo:[1,0,0] neg_hi:[1,0,0]
	v_mov_b32_e32 v136, v109
	v_mov_b32_e32 v137, v70
	v_pk_fma_f32 v[68:69], v[134:135], s[18:19], v[68:69] op_sel_hi:[1,0,1] neg_lo:[1,0,1] neg_hi:[1,0,1]
	v_mov_b32_e32 v134, v73
	v_mov_b32_e32 v135, v106
	;; [unrolled: 1-line block ×3, first 2 shown]
	v_pk_fma_f32 v[106:107], v[144:145], s[0:1], v[138:139] op_sel_hi:[1,0,1]
	v_pk_mul_f32 v[138:139], v[60:61], v[24:25] op_sel_hi:[1,0]
	v_pk_add_f32 v[140:141], v[68:69], v[110:111]
	v_pk_add_f32 v[66:67], v[136:137], v[110:111] op_sel:[0,1] op_sel_hi:[1,0]
	v_mov_b32_e32 v68, v142
	v_mov_b32_e32 v69, v111
	v_mov_b32_e32 v73, v71
	v_mov_b32_e32 v111, v143
	v_pk_add_f32 v[70:71], v[142:143], v[134:135] op_sel:[1,0] op_sel_hi:[0,1]
	v_pk_fma_f32 v[142:143], v[60:61], v[24:25], v[138:139] op_sel:[0,1,1] op_sel_hi:[1,1,0]
	v_pk_fma_f32 v[60:61], v[60:61], v[24:25], v[138:139] op_sel:[0,1,1] op_sel_hi:[1,1,0] neg_lo:[1,0,0] neg_hi:[1,0,0]
	v_mov_b32_e32 v138, v53
	v_mov_b32_e32 v139, v56
	;; [unrolled: 1-line block ×7, first 2 shown]
	v_pk_mul_f32 v[52:53], v[52:53], v[56:57]
	v_pk_add_f32 v[254:255], v[66:67], v[70:71]
	v_pk_fma_f32 v[56:57], v[138:139], v[26:27], v[52:53]
	v_pk_fma_f32 v[52:53], v[138:139], v[144:145], v[52:53] neg_lo:[0,0,1] neg_hi:[0,0,1]
	v_mov_b32_e32 v138, v49
	v_mov_b32_e32 v139, v40
	;; [unrolled: 1-line block ×7, first 2 shown]
	v_pk_mul_f32 v[40:41], v[48:49], v[40:41]
	v_pk_add_f32 v[134:135], v[66:67], v[70:71] neg_lo:[0,1] neg_hi:[0,1]
	v_pk_fma_f32 v[48:49], v[138:139], v[20:21], v[40:41]
	v_pk_fma_f32 v[40:41], v[138:139], v[144:145], v[40:41] neg_lo:[0,0,1] neg_hi:[0,0,1]
	v_pk_mul_f32 v[138:139], v[44:45], v[22:23] op_sel_hi:[1,0]
	v_mov_b32_e32 v40, v23
	v_pk_fma_f32 v[144:145], v[44:45], v[40:41], v[138:139] op_sel:[0,0,1] op_sel_hi:[1,0,0]
	v_pk_fma_f32 v[44:45], v[44:45], v[40:41], v[138:139] op_sel:[0,0,1] op_sel_hi:[1,0,0] neg_lo:[1,0,0] neg_hi:[1,0,0]
	v_mov_b32_e32 v143, v61
	v_mov_b32_e32 v57, v53
	;; [unrolled: 1-line block ×7, first 2 shown]
	v_pk_add_f32 v[134:135], v[128:129], v[130:131]
	v_pk_add_f32 v[138:139], v[142:143], v[144:145]
	v_pk_add_f32 v[142:143], v[142:143], v[144:145] neg_lo:[0,1] neg_hi:[0,1]
	v_pk_add_f32 v[144:145], v[56:57], v[48:49]
	v_pk_add_f32 v[44:45], v[88:89], v[132:133]
	v_pk_add_f32 v[48:49], v[56:57], v[48:49] neg_lo:[0,1] neg_hi:[0,1]
	v_mov_b32_e32 v56, v45
	v_mov_b32_e32 v57, v128
	;; [unrolled: 1-line block ×8, first 2 shown]
	v_pk_add_f32 v[56:57], v[56:57], v[60:61] neg_lo:[0,1] neg_hi:[0,1]
	v_pk_add_f32 v[132:133], v[134:135], v[44:45]
	v_pk_add_f32 v[40:41], v[40:41], v[52:53]
	v_mov_b32_e32 v128, v56
	v_mov_b32_e32 v129, v143
	;; [unrolled: 1-line block ×6, first 2 shown]
	v_pk_add_f32 v[128:129], v[128:129], v[48:49] neg_lo:[0,1] neg_hi:[0,1]
	s_mov_b32 s31, s26
	v_pk_add_f32 v[52:53], v[52:53], v[134:135] neg_lo:[0,1] neg_hi:[0,1]
	v_mov_b32_e32 v45, v133
	v_mov_b32_e32 v146, v40
	;; [unrolled: 1-line block ×3, first 2 shown]
	v_pk_add_f32 v[40:41], v[132:133], v[40:41]
	s_mov_b32 s29, s22
	v_pk_add_f32 v[60:61], v[60:61], v[56:57] neg_lo:[0,1] neg_hi:[0,1]
	s_mov_b32 s27, s30
	v_pk_mul_f32 v[128:129], v[128:129], s[30:31]
	v_pk_add_f32 v[130:131], v[48:49], v[56:57]
	v_pk_add_f32 v[146:147], v[44:45], v[146:147] neg_lo:[0,1] neg_hi:[0,1]
	v_pk_add_f32 v[36:37], v[36:37], v[40:41]
	v_pk_mul_f32 v[52:53], v[52:53], s[28:29]
	s_mov_b32 s23, s28
	v_mul_f32_e32 v7, v55, v19
	s_movk_i32 s1, 0x43
	v_pk_mul_f32 v[88:89], v[60:61], s[26:27]
	v_pk_add_f32 v[130:131], v[130:131], v[142:143]
	v_pk_mul_f32 v[132:133], v[146:147], s[22:23]
	v_pk_fma_f32 v[40:41], v[40:41], s[20:21], v[36:37] op_sel_hi:[1,0,1] neg_lo:[1,0,0] neg_hi:[1,0,0]
	v_pk_fma_f32 v[146:147], v[146:147], s[22:23], v[52:53]
	v_pk_fma_f32 v[60:61], v[60:61], s[26:27], v[128:129]
	v_fma_f32 v76, v54, v18, -v7
	v_mov_b32_e32 v7, 0x1dc
	v_cmp_lt_u16_e32 vcc, s1, v84
	v_pk_add_f32 v[146:147], v[146:147], v[40:41]
	v_pk_fma_f32 v[60:61], v[130:131], s[0:1], v[60:61] op_sel_hi:[1,0,1]
	v_cndmask_b32_e32 v7, 0, v7, vcc
	v_pk_add_f32 v[148:149], v[146:147], v[60:61]
	v_pk_add_f32 v[60:61], v[146:147], v[60:61] neg_lo:[0,1] neg_hi:[0,1]
	v_add_lshl_u32 v137, v6, v7, 3
	v_mov_b32_e32 v146, v148
	v_mov_b32_e32 v147, v61
	;; [unrolled: 1-line block ×5, first 2 shown]
	ds_write2_b64 v137, v[36:37], v[146:147] offset1:68
	v_pk_add_f32 v[36:37], v[48:49], v[142:143] neg_lo:[0,1] neg_hi:[0,1]
	v_pk_add_f32 v[44:45], v[134:135], v[44:45] neg_lo:[0,1] neg_hi:[0,1]
	v_mov_b32_e32 v48, v132
	v_mov_b32_e32 v49, v53
	;; [unrolled: 1-line block ×6, first 2 shown]
	v_pk_fma_f32 v[48:49], v[44:45], s[18:19], v[48:49] op_sel_hi:[1,0,1] neg_lo:[1,0,1] neg_hi:[1,0,1]
	v_pk_fma_f32 v[56:57], v[36:37], s[24:25], v[56:57] op_sel_hi:[1,0,1] neg_lo:[1,0,1] neg_hi:[1,0,1]
	;; [unrolled: 1-line block ×4, first 2 shown]
	v_pk_add_f32 v[48:49], v[48:49], v[40:41]
	v_pk_fma_f32 v[56:57], v[130:131], s[0:1], v[56:57] op_sel_hi:[1,0,1]
	v_pk_add_f32 v[40:41], v[44:45], v[40:41]
	v_pk_fma_f32 v[36:37], v[130:131], s[0:1], v[36:37] op_sel_hi:[1,0,1]
	v_pk_add_f32 v[134:135], v[48:49], v[56:57]
	v_pk_add_f32 v[48:49], v[48:49], v[56:57] neg_lo:[0,1] neg_hi:[0,1]
	v_pk_add_f32 v[44:45], v[40:41], v[36:37] neg_lo:[0,1] neg_hi:[0,1]
	v_pk_add_f32 v[36:37], v[40:41], v[36:37]
	v_mov_b32_e32 v56, v134
	v_mov_b32_e32 v57, v49
	;; [unrolled: 1-line block ×6, first 2 shown]
	v_add_u32_e32 v6, 0x800, v137
	ds_write2_b64 v137, v[56:57], v[40:41] offset0:136 offset1:204
	ds_write2_b64 v6, v[36:37], v[48:49] offset0:16 offset1:84
	v_mov_b32_e32 v48, v55
	v_mov_b32_e32 v55, v59
	v_mov_b32_e32 v56, v19
	v_mov_b32_e32 v57, v35
	v_mov_b32_e32 v49, v58
	v_mov_b32_e32 v52, v18
	v_mov_b32_e32 v53, v34
	v_pk_mul_f32 v[54:55], v[54:55], v[56:57]
	v_mul_f32_e32 v77, v43, v32
	v_mul_f32_e32 v75, v42, v33
	v_pk_mul_f32 v[40:41], v[62:63], v[16:17] op_sel_hi:[1,0]
	v_pk_fma_f32 v[56:57], v[48:49], v[18:19], v[54:55]
	v_pk_fma_f32 v[48:49], v[48:49], v[52:53], v[54:55] neg_lo:[0,0,1] neg_hi:[0,0,1]
	v_mov_b32_e32 v52, v51
	v_mov_b32_e32 v53, v42
	;; [unrolled: 1-line block ×5, first 2 shown]
	v_pk_fma_f32 v[44:45], v[62:63], v[16:17], v[40:41] op_sel:[0,1,1] op_sel_hi:[1,1,0]
	v_pk_fma_f32 v[40:41], v[62:63], v[16:17], v[40:41] op_sel:[0,1,1] op_sel_hi:[1,1,0] neg_lo:[1,0,0] neg_hi:[1,0,0]
	v_mov_b32_e32 v54, v12
	v_mov_b32_e32 v55, v32
	v_pk_mul_f32 v[42:43], v[50:51], v[42:43]
	v_mov_b32_e32 v40, v15
	v_pk_fma_f32 v[50:51], v[52:53], v[12:13], v[42:43]
	v_pk_fma_f32 v[42:43], v[52:53], v[54:55], v[42:43] neg_lo:[0,0,1] neg_hi:[0,0,1]
	v_pk_mul_f32 v[52:53], v[46:47], v[14:15] op_sel_hi:[1,0]
	v_mul_f32_e32 v79, v59, v34
	v_mul_f32_e32 v81, v58, v35
	v_mov_b32_e32 v78, v71
	v_mov_b32_e32 v80, v67
	v_pk_fma_f32 v[54:55], v[46:47], v[40:41], v[52:53] op_sel:[0,0,1] op_sel_hi:[1,0,0]
	v_pk_fma_f32 v[46:47], v[46:47], v[40:41], v[52:53] op_sel:[0,0,1] op_sel_hi:[1,0,0] neg_lo:[1,0,0] neg_hi:[1,0,0]
	v_pk_add_f32 v[90:91], v[78:79], v[80:81]
	v_mov_b32_e32 v45, v41
	v_mov_b32_e32 v57, v49
	;; [unrolled: 1-line block ×6, first 2 shown]
	v_pk_add_f32 v[36:37], v[76:77], v[74:75]
	v_pk_add_f32 v[52:53], v[44:45], v[54:55]
	v_pk_add_f32 v[44:45], v[44:45], v[54:55] neg_lo:[0,1] neg_hi:[0,1]
	v_pk_add_f32 v[54:55], v[56:57], v[50:51]
	v_pk_add_f32 v[40:41], v[78:79], v[80:81]
	v_pk_add_f32 v[50:51], v[56:57], v[50:51] neg_lo:[0,1] neg_hi:[0,1]
	v_mov_b32_e32 v46, v41
	v_mov_b32_e32 v47, v76
	;; [unrolled: 1-line block ×9, first 2 shown]
	v_pk_add_f32 v[46:47], v[46:47], v[56:57] neg_lo:[0,1] neg_hi:[0,1]
	v_pk_add_f32 v[74:75], v[36:37], v[40:41]
	v_pk_add_f32 v[42:43], v[42:43], v[48:49]
	ds_write_b64 v137, v[60:61] offset:3264
	v_mov_b32_e32 v60, v46
	v_mov_b32_e32 v61, v45
	;; [unrolled: 1-line block ×6, first 2 shown]
	v_pk_add_f32 v[60:61], v[60:61], v[50:51] neg_lo:[0,1] neg_hi:[0,1]
	v_pk_add_f32 v[48:49], v[48:49], v[36:37] neg_lo:[0,1] neg_hi:[0,1]
	v_mov_b32_e32 v41, v75
	v_mov_b32_e32 v76, v42
	;; [unrolled: 1-line block ×3, first 2 shown]
	v_pk_add_f32 v[42:43], v[74:75], v[42:43]
	v_pk_add_f32 v[56:57], v[56:57], v[46:47] neg_lo:[0,1] neg_hi:[0,1]
	v_pk_mul_f32 v[60:61], v[60:61], s[30:31]
	v_pk_add_f32 v[62:63], v[50:51], v[46:47]
	v_pk_add_f32 v[76:77], v[40:41], v[76:77] neg_lo:[0,1] neg_hi:[0,1]
	v_pk_add_f32 v[38:39], v[38:39], v[42:43]
	v_pk_mul_f32 v[48:49], v[48:49], s[28:29]
	v_pk_mul_f32 v[58:59], v[56:57], s[26:27]
	v_pk_add_f32 v[62:63], v[62:63], v[44:45]
	v_pk_mul_f32 v[74:75], v[76:77], s[22:23]
	v_pk_fma_f32 v[42:43], v[42:43], s[20:21], v[38:39] op_sel_hi:[1,0,1] neg_lo:[1,0,0] neg_hi:[1,0,0]
	v_pk_fma_f32 v[76:77], v[76:77], s[22:23], v[48:49]
	v_pk_fma_f32 v[56:57], v[56:57], s[26:27], v[60:61]
	v_pk_add_f32 v[76:77], v[76:77], v[42:43]
	v_pk_fma_f32 v[56:57], v[62:63], s[0:1], v[56:57] op_sel_hi:[1,0,1]
	v_mov_b32_e32 v51, v47
	v_pk_add_f32 v[78:79], v[76:77], v[56:57]
	v_pk_add_f32 v[56:57], v[76:77], v[56:57] neg_lo:[0,1] neg_hi:[0,1]
	v_mov_b32_e32 v76, v78
	v_mov_b32_e32 v77, v57
	;; [unrolled: 1-line block ×4, first 2 shown]
	ds_write2_b64 v5, v[38:39], v[76:77] offset1:68
	v_pk_add_f32 v[38:39], v[50:51], v[44:45] neg_lo:[0,1] neg_hi:[0,1]
	v_pk_add_f32 v[36:37], v[36:37], v[40:41] neg_lo:[0,1] neg_hi:[0,1]
	v_mov_b32_e32 v40, v74
	v_mov_b32_e32 v41, v49
	v_mov_b32_e32 v44, v58
	v_mov_b32_e32 v45, v61
	v_mov_b32_e32 v49, v75
	v_mov_b32_e32 v61, v59
	v_pk_add_f32 v[72:73], v[68:69], v[72:73]
	v_pk_add_f32 v[68:69], v[108:109], v[110:111]
	v_pk_fma_f32 v[40:41], v[36:37], s[18:19], v[40:41] op_sel_hi:[1,0,1] neg_lo:[1,0,1] neg_hi:[1,0,1]
	v_pk_fma_f32 v[44:45], v[38:39], s[24:25], v[44:45] op_sel_hi:[1,0,1] neg_lo:[1,0,1] neg_hi:[1,0,1]
	;; [unrolled: 1-line block ×4, first 2 shown]
	v_pk_add_f32 v[110:111], v[140:141], v[106:107]
	v_pk_add_f32 v[252:253], v[140:141], v[106:107] neg_lo:[0,1] neg_hi:[0,1]
	v_pk_add_f32 v[106:107], v[72:73], v[68:69] neg_lo:[0,1] neg_hi:[0,1]
	v_pk_add_f32 v[40:41], v[40:41], v[42:43]
	v_pk_fma_f32 v[44:45], v[62:63], s[0:1], v[44:45] op_sel_hi:[1,0,1]
	v_pk_add_f32 v[36:37], v[36:37], v[42:43]
	v_pk_fma_f32 v[38:39], v[62:63], s[0:1], v[38:39] op_sel_hi:[1,0,1]
	v_mov_b32_e32 v91, v107
	v_accvgpr_write_b32 a60, v90
	v_pk_add_f32 v[250:251], v[68:69], v[72:73] neg_lo:[0,1] neg_hi:[0,1]
	v_pk_add_f32 v[72:73], v[68:69], v[72:73]
	v_pk_add_f32 v[46:47], v[40:41], v[44:45]
	v_pk_add_f32 v[40:41], v[40:41], v[44:45] neg_lo:[0,1] neg_hi:[0,1]
	v_pk_add_f32 v[42:43], v[36:37], v[38:39] neg_lo:[0,1] neg_hi:[0,1]
	v_pk_add_f32 v[36:37], v[36:37], v[38:39]
	v_mov_b32_e32 v140, v110
	v_mov_b32_e32 v141, v253
	v_accvgpr_write_b32 a61, v91
	v_mov_b32_e32 v253, v111
	v_mov_b32_e32 v251, v73
	;; [unrolled: 1-line block ×9, first 2 shown]
	v_lshlrev_b32_e32 v133, 3, v83
	ds_write2_b64 v5, v[44:45], v[38:39] offset0:136 offset1:204
	ds_write2_b64 v4, v[36:37], v[40:41] offset0:16 offset1:84
	ds_write_b64 v5, v[56:57] offset:3264
	s_and_saveexec_b64 s[0:1], s[2:3]
	s_cbranch_execz .LBB0_11
; %bb.10:
	v_mov_b32_e32 v37, v66
	v_mov_b32_e32 v69, v70
	v_pk_add_f32 v[36:37], v[36:37], v[68:69] neg_lo:[0,1] neg_hi:[0,1]
	v_add_u32_e32 v4, 0x2800, v133
	v_mov_b32_e32 v73, v37
	ds_write2_b64 v4, v[64:65], v[72:73] offset0:148 offset1:216
	v_mov_b32_e32 v36, v255
	v_mov_b32_e32 v37, v251
	v_add_u32_e32 v4, 0x3000, v133
	v_accvgpr_read_b32 v6, a60
	ds_write2_b64 v4, v[140:141], v[36:37] offset0:28 offset1:96
	v_accvgpr_read_b32 v7, a61
	v_mov_b32_e32 v36, v250
	v_mov_b32_e32 v37, v254
	ds_write2_b64 v4, v[6:7], v[252:253] offset0:164 offset1:232
	ds_write_b64 v133, v[36:37] offset:14688
.LBB0_11:
	s_or_b64 exec, exec, s[0:1]
	v_mad_u64_u32 v[52:53], s[0:1], v84, 24, s[14:15]
	v_add_co_u32_e32 v36, vcc, 0x1000, v52
	s_mov_b64 s[0:1], 0x1980
	s_nop 0
	v_addc_co_u32_e32 v37, vcc, 0, v53, vcc
	s_waitcnt lgkmcnt(0)
	s_barrier
	global_load_dwordx4 v[48:51], v[52:53], off offset:3672
	global_load_dwordx2 v[134:135], v[52:53], off offset:3688
	global_load_dwordx4 v[44:47], v[36:37], off offset:2432
	v_lshl_add_u64 v[36:37], v[52:53], 0, s[0:1]
	s_mov_b64 s[0:1], 0x24a8
	v_lshl_add_u64 v[38:39], v[52:53], 0, s[0:1]
	global_load_dwordx2 v[130:131], v[36:37], off offset:16
	global_load_dwordx2 v[128:129], v[38:39], off offset:16
	v_add_co_u32_e32 v36, vcc, 0x2000, v52
	s_mov_b64 s[0:1], 0x2fd0
	s_nop 0
	v_addc_co_u32_e32 v37, vcc, 0, v53, vcc
	global_load_dwordx4 v[40:43], v[36:37], off offset:1192
	v_lshl_add_u64 v[56:57], v[52:53], 0, s[0:1]
	global_load_dwordx2 v[110:111], v[56:57], off offset:16
	v_add_u32_e32 v7, 0xc00, v85
	global_load_dwordx4 v[36:39], v[36:37], off offset:4048
	v_add_u32_e32 v4, 0x1400, v85
	v_add_u32_e32 v5, 0x2400, v85
	ds_read2_b64 v[52:55], v7 offset0:92 offset1:211
	v_add_u32_e32 v6, 0x3000, v85
	ds_read2_b64 v[58:61], v85 offset1:119
	v_add_u32_e32 v87, 0x1c00, v85
	v_add_u32_e32 v90, 0x2c00, v85
	ds_read2_b64 v[68:71], v4 offset0:74 offset1:193
	ds_read2_b64 v[72:75], v5 offset0:38 offset1:157
	;; [unrolled: 1-line block ×5, first 2 shown]
	v_add_u32_e32 v91, 0x400, v85
	s_movk_i32 s18, 0x3000
	s_movk_i32 s20, 0x1000
	;; [unrolled: 1-line block ×3, first 2 shown]
	s_waitcnt vmcnt(7) lgkmcnt(6)
	v_pk_mul_f32 v[56:57], v[52:53], v[48:49] op_sel_hi:[1,0]
	v_mov_b32_e32 v66, v49
	v_mov_b32_e32 v88, v51
	s_waitcnt vmcnt(6) lgkmcnt(1)
	v_pk_mul_f32 v[138:139], v[62:63], v[134:135] op_sel_hi:[1,0]
	v_mov_b32_e32 v142, v135
	v_pk_fma_f32 v[66:67], v[52:53], v[66:67], v[56:57] op_sel:[0,0,1] op_sel_hi:[1,1,0]
	v_pk_fma_f32 v[52:53], v[52:53], v[48:49], v[56:57] op_sel:[0,1,1] op_sel_hi:[1,1,0] neg_lo:[1,0,0] neg_hi:[1,0,0]
	s_waitcnt lgkmcnt(0)
	v_pk_mul_f32 v[56:57], v[80:81], v[88:89] op_sel_hi:[1,0]
	v_pk_fma_f32 v[88:89], v[62:63], v[142:143], v[138:139] op_sel:[0,0,1] op_sel_hi:[1,1,0]
	v_pk_fma_f32 v[62:63], v[62:63], v[134:135], v[138:139] op_sel:[0,1,1] op_sel_hi:[1,1,0] neg_lo:[1,0,0] neg_hi:[1,0,0]
	v_mov_b32_e32 v67, v53
	v_pk_fma_f32 v[52:53], v[80:81], v[50:51], v[56:57] op_sel:[0,0,1] op_sel_hi:[1,1,0] neg_lo:[0,0,1] neg_hi:[0,0,1]
	v_pk_fma_f32 v[56:57], v[80:81], v[50:51], v[56:57] op_sel:[0,0,1] op_sel_hi:[1,0,0]
	v_mov_b32_e32 v89, v63
	s_waitcnt vmcnt(5)
	v_pk_mul_f32 v[62:63], v[54:55], v[44:45] op_sel_hi:[1,0]
	v_mov_b32_e32 v56, v45
	v_mov_b32_e32 v80, v47
	s_waitcnt vmcnt(4)
	v_pk_mul_f32 v[138:139], v[64:65], v[130:131] op_sel_hi:[1,0]
	v_mov_b32_e32 v142, v131
	v_mov_b32_e32 v53, v57
	v_pk_fma_f32 v[144:145], v[54:55], v[56:57], v[62:63] op_sel:[0,0,1] op_sel_hi:[1,1,0]
	v_pk_mul_f32 v[56:57], v[82:83], v[80:81] op_sel_hi:[1,0]
	v_pk_add_f32 v[80:81], v[66:67], v[88:89] neg_lo:[0,1] neg_hi:[0,1]
	s_waitcnt vmcnt(2)
	v_pk_mul_f32 v[88:89], v[68:69], v[40:41] op_sel:[0,1]
	v_pk_fma_f32 v[54:55], v[54:55], v[44:45], v[62:63] op_sel:[0,1,1] op_sel_hi:[1,1,0] neg_lo:[1,0,0] neg_hi:[1,0,0]
	v_pk_fma_f32 v[62:63], v[64:65], v[142:143], v[138:139] op_sel:[0,0,1] op_sel_hi:[1,1,0]
	v_pk_fma_f32 v[64:65], v[64:65], v[130:131], v[138:139] op_sel:[0,1,1] op_sel_hi:[1,1,0] neg_lo:[1,0,0] neg_hi:[1,0,0]
	v_pk_fma_f32 v[138:139], v[68:69], v[40:41], v[88:89] op_sel:[1,0,0] op_sel_hi:[0,1,1]
	v_pk_fma_f32 v[68:69], v[68:69], v[40:41], v[88:89] op_sel:[1,0,0] op_sel_hi:[0,0,1] neg_lo:[0,0,1] neg_hi:[0,0,1]
	v_mov_b32_e32 v68, v43
	v_mov_b32_e32 v145, v55
	v_pk_fma_f32 v[54:55], v[82:83], v[46:47], v[56:57] op_sel:[0,0,1] op_sel_hi:[1,1,0] neg_lo:[0,0,1] neg_hi:[0,0,1]
	v_pk_fma_f32 v[56:57], v[82:83], v[46:47], v[56:57] op_sel:[0,0,1] op_sel_hi:[1,0,0]
	v_mov_b32_e32 v63, v65
	v_pk_add_f32 v[64:65], v[58:59], v[52:53] neg_lo:[0,1] neg_hi:[0,1]
	v_mov_b32_e32 v139, v69
	v_pk_mul_f32 v[68:69], v[72:73], v[68:69] op_sel_hi:[1,0]
	v_pk_fma_f32 v[52:53], v[66:67], 2.0, v[80:81] op_sel_hi:[1,0,1] neg_lo:[0,0,1] neg_hi:[0,0,1]
	v_mov_b32_e32 v55, v57
	v_pk_fma_f32 v[66:67], v[58:59], 2.0, v[64:65] op_sel_hi:[1,0,1] neg_lo:[0,0,1] neg_hi:[0,0,1]
	v_pk_add_f32 v[58:59], v[64:65], v[80:81] neg_lo:[0,1] neg_hi:[0,1]
	v_pk_add_f32 v[80:81], v[64:65], v[80:81]
	v_pk_fma_f32 v[88:89], v[72:73], v[42:43], v[68:69] op_sel:[0,0,1] op_sel_hi:[1,1,0] neg_lo:[0,0,1] neg_hi:[0,0,1]
	v_pk_fma_f32 v[68:69], v[72:73], v[42:43], v[68:69] op_sel:[0,0,1] op_sel_hi:[1,0,0]
	v_pk_add_f32 v[56:57], v[66:67], v[52:53] op_sel:[0,1] op_sel_hi:[1,0] neg_lo:[0,1] neg_hi:[0,1]
	v_mov_b32_e32 v59, v81
	v_pk_add_f32 v[80:81], v[60:61], v[54:55] neg_lo:[0,1] neg_hi:[0,1]
	v_pk_add_f32 v[62:63], v[144:145], v[62:63] neg_lo:[0,1] neg_hi:[0,1]
	v_mov_b32_e32 v89, v69
	v_pk_mul_f32 v[68:69], v[76:77], v[128:129] op_sel:[0,1]
	v_pk_fma_f32 v[52:53], v[66:67], 2.0, v[56:57] op_sel_hi:[1,0,1] neg_lo:[0,0,1] neg_hi:[0,0,1]
	v_pk_fma_f32 v[54:55], v[64:65], 2.0, v[58:59] op_sel_hi:[1,0,1] neg_lo:[0,0,1] neg_hi:[0,0,1]
	;; [unrolled: 1-line block ×3, first 2 shown]
	v_pk_add_f32 v[66:67], v[80:81], v[62:63] neg_lo:[0,1] neg_hi:[0,1]
	v_pk_add_f32 v[62:63], v[80:81], v[62:63]
	v_pk_fma_f32 v[72:73], v[76:77], v[128:129], v[68:69] op_sel:[1,0,0] op_sel_hi:[0,1,1]
	v_pk_fma_f32 v[68:69], v[76:77], v[128:129], v[68:69] op_sel:[1,0,0] op_sel_hi:[0,0,1] neg_lo:[0,0,1] neg_hi:[0,0,1]
	v_mov_b32_e32 v67, v63
	v_mov_b32_e32 v73, v69
	s_waitcnt vmcnt(0)
	v_pk_mul_f32 v[68:69], v[70:71], v[36:37] op_sel_hi:[1,0]
	v_mov_b32_e32 v76, v37
	v_pk_fma_f32 v[60:61], v[60:61], 2.0, v[80:81] op_sel_hi:[1,0,1] neg_lo:[0,0,1] neg_hi:[0,0,1]
	v_pk_fma_f32 v[62:63], v[80:81], 2.0, v[66:67] op_sel_hi:[1,0,1] neg_lo:[0,0,1] neg_hi:[0,0,1]
	ds_read2_b64 v[80:83], v91 offset0:110 offset1:229
	v_pk_fma_f32 v[76:77], v[70:71], v[76:77], v[68:69] op_sel:[0,0,1] op_sel_hi:[1,1,0]
	v_pk_fma_f32 v[68:69], v[70:71], v[36:37], v[68:69] op_sel:[0,1,1] op_sel_hi:[1,1,0] neg_lo:[1,0,0] neg_hi:[1,0,0]
	v_mov_b32_e32 v70, v111
	v_mov_b32_e32 v68, v39
	;; [unrolled: 1-line block ×3, first 2 shown]
	v_pk_mul_f32 v[68:69], v[74:75], v[68:69] op_sel_hi:[1,0]
	v_pk_add_f32 v[64:65], v[60:61], v[64:65] op_sel:[0,1] op_sel_hi:[1,0] neg_lo:[0,1] neg_hi:[0,1]
	v_pk_fma_f32 v[142:143], v[74:75], v[38:39], v[68:69] op_sel:[0,0,1] op_sel_hi:[1,1,0] neg_lo:[0,0,1] neg_hi:[0,0,1]
	v_pk_fma_f32 v[68:69], v[74:75], v[38:39], v[68:69] op_sel:[0,0,1] op_sel_hi:[1,0,0]
	v_pk_fma_f32 v[60:61], v[60:61], 2.0, v[64:65] op_sel_hi:[1,0,1] neg_lo:[0,0,1] neg_hi:[0,0,1]
	v_mov_b32_e32 v143, v69
	v_pk_mul_f32 v[68:69], v[78:79], v[110:111] op_sel_hi:[1,0]
	s_nop 0
	v_pk_fma_f32 v[144:145], v[78:79], v[70:71], v[68:69] op_sel:[0,0,1] op_sel_hi:[1,1,0]
	v_pk_fma_f32 v[68:69], v[78:79], v[110:111], v[68:69] op_sel:[0,1,1] op_sel_hi:[1,1,0] neg_lo:[1,0,0] neg_hi:[1,0,0]
	s_waitcnt lgkmcnt(0)
	v_pk_add_f32 v[70:71], v[80:81], v[88:89] neg_lo:[0,1] neg_hi:[0,1]
	v_pk_add_f32 v[78:79], v[138:139], v[72:73] neg_lo:[0,1] neg_hi:[0,1]
	v_mov_b32_e32 v145, v69
	v_pk_fma_f32 v[72:73], v[138:139], 2.0, v[78:79] op_sel_hi:[1,0,1] neg_lo:[0,0,1] neg_hi:[0,0,1]
	v_pk_add_f32 v[74:75], v[70:71], v[78:79] neg_lo:[0,1] neg_hi:[0,1]
	v_pk_add_f32 v[78:79], v[70:71], v[78:79]
	v_pk_add_f32 v[88:89], v[76:77], v[144:145] neg_lo:[0,1] neg_hi:[0,1]
	v_mov_b32_e32 v75, v79
	v_pk_add_f32 v[78:79], v[82:83], v[142:143] neg_lo:[0,1] neg_hi:[0,1]
	v_pk_fma_f32 v[76:77], v[76:77], 2.0, v[88:89] op_sel_hi:[1,0,1] neg_lo:[0,0,1] neg_hi:[0,0,1]
	v_pk_fma_f32 v[82:83], v[82:83], 2.0, v[78:79] op_sel_hi:[1,0,1] neg_lo:[0,0,1] neg_hi:[0,0,1]
	;; [unrolled: 1-line block ×3, first 2 shown]
	v_pk_add_f32 v[80:81], v[82:83], v[76:77] op_sel:[0,1] op_sel_hi:[1,0] neg_lo:[0,1] neg_hi:[0,1]
	v_pk_add_f32 v[72:73], v[68:69], v[72:73] op_sel:[0,1] op_sel_hi:[1,0] neg_lo:[0,1] neg_hi:[0,1]
	v_pk_fma_f32 v[76:77], v[82:83], 2.0, v[80:81] op_sel_hi:[1,0,1] neg_lo:[0,0,1] neg_hi:[0,0,1]
	v_pk_add_f32 v[82:83], v[78:79], v[88:89] neg_lo:[0,1] neg_hi:[0,1]
	v_pk_add_f32 v[88:89], v[78:79], v[88:89]
	v_pk_fma_f32 v[68:69], v[68:69], 2.0, v[72:73] op_sel_hi:[1,0,1] neg_lo:[0,0,1] neg_hi:[0,0,1]
	v_mov_b32_e32 v83, v89
	v_pk_fma_f32 v[70:71], v[70:71], 2.0, v[74:75] op_sel_hi:[1,0,1] neg_lo:[0,0,1] neg_hi:[0,0,1]
	v_pk_fma_f32 v[78:79], v[78:79], 2.0, v[82:83] op_sel_hi:[1,0,1] neg_lo:[0,0,1] neg_hi:[0,0,1]
	ds_write2_b64 v85, v[52:53], v[60:61] offset1:119
	ds_write2_b64 v7, v[54:55], v[62:63] offset0:92 offset1:211
	ds_write2_b64 v87, v[56:57], v[64:65] offset0:56 offset1:175
	;; [unrolled: 1-line block ×7, first 2 shown]
	s_waitcnt lgkmcnt(0)
	s_barrier
	s_and_saveexec_b64 s[0:1], s[6:7]
	s_cbranch_execz .LBB0_13
; %bb.12:
	s_add_u32 s14, s12, 0x3b80
	s_addc_u32 s15, s13, 0
	global_load_dwordx2 v[88:89], v86, s[14:15]
	v_mov_b32_e32 v87, 0
	v_lshl_add_u64 v[138:139], s[14:15], 0, v[86:87]
	v_add_co_u32_e32 v142, vcc, s20, v138
	global_load_dwordx2 v[166:167], v86, s[14:15] offset:896
	global_load_dwordx2 v[168:169], v86, s[14:15] offset:1792
	;; [unrolled: 1-line block ×4, first 2 shown]
	v_addc_co_u32_e32 v143, vcc, 0, v139, vcc
	global_load_dwordx2 v[174:175], v[142:143], off offset:384
	v_or_b32_e32 v4, 0x1c00, v86
	global_load_dwordx2 v[176:177], v[142:143], off offset:1280
	global_load_dwordx2 v[178:179], v4, s[14:15]
	global_load_dwordx2 v[180:181], v[142:143], off offset:2176
	global_load_dwordx2 v[182:183], v[142:143], off offset:3968
	v_add_co_u32_e32 v142, vcc, s19, v138
	v_or_b32_e32 v90, 0x3800, v86
	s_nop 0
	v_addc_co_u32_e32 v143, vcc, 0, v139, vcc
	global_load_dwordx2 v[184:185], v[142:143], off offset:768
	global_load_dwordx2 v[186:187], v[142:143], off offset:1664
	;; [unrolled: 1-line block ×3, first 2 shown]
	v_add_co_u32_e32 v138, vcc, s18, v138
	global_load_dwordx2 v[190:191], v[142:143], off offset:3456
	s_nop 0
	v_addc_co_u32_e32 v139, vcc, 0, v139, vcc
	global_load_dwordx2 v[192:193], v[138:139], off offset:256
	ds_read_b64 v[144:145], v85
	global_load_dwordx2 v[138:139], v[138:139], off offset:1152
	s_nop 0
	global_load_dwordx2 v[194:195], v90, s[14:15]
	v_add_u32_e32 v4, 0x800, v86
	v_add_u32_e32 v5, 0x1000, v86
	;; [unrolled: 1-line block ×5, first 2 shown]
	v_mov_b64_e32 v[106:107], v[94:95]
	v_mov_b64_e32 v[108:109], v[96:97]
	s_waitcnt vmcnt(16) lgkmcnt(0)
	v_mul_f32_e32 v90, v145, v89
	v_mul_f32_e32 v143, v144, v89
	v_fma_f32 v142, v144, v88, -v90
	v_fmac_f32_e32 v143, v145, v88
	ds_write_b64 v85, v[142:143]
	ds_read2_b64 v[142:145], v86 offset0:112 offset1:224
	ds_read2_b64 v[146:149], v4 offset0:80 offset1:192
	;; [unrolled: 1-line block ×6, first 2 shown]
	s_waitcnt vmcnt(15) lgkmcnt(5)
	v_mul_f32_e32 v88, v143, v167
	v_mul_f32_e32 v89, v142, v167
	s_waitcnt vmcnt(14)
	v_mul_f32_e32 v90, v145, v169
	v_mul_f32_e32 v167, v144, v169
	s_waitcnt vmcnt(13) lgkmcnt(4)
	v_mul_f32_e32 v91, v147, v171
	v_mul_f32_e32 v169, v146, v171
	s_waitcnt vmcnt(12)
	v_mul_f32_e32 v92, v149, v173
	v_mul_f32_e32 v171, v148, v173
	;; [unrolled: 6-line block ×3, first 2 shown]
	s_waitcnt vmcnt(8) lgkmcnt(2)
	v_mul_f32_e32 v95, v155, v181
	v_mul_f32_e32 v177, v154, v181
	;; [unrolled: 1-line block ×4, first 2 shown]
	v_fma_f32 v88, v142, v166, -v88
	v_fmac_f32_e32 v89, v143, v166
	v_fma_f32 v166, v144, v168, -v90
	v_fmac_f32_e32 v167, v145, v168
	s_waitcnt vmcnt(7) lgkmcnt(1)
	v_mul_f32_e32 v97, v159, v183
	v_mul_f32_e32 v179, v158, v183
	s_waitcnt vmcnt(6)
	v_mul_f32_e32 v98, v161, v185
	v_fma_f32 v168, v146, v170, -v91
	v_fmac_f32_e32 v169, v147, v170
	v_fma_f32 v170, v148, v172, -v92
	v_fmac_f32_e32 v171, v149, v172
	;; [unrolled: 2-line block ×6, first 2 shown]
	ds_write2_b64 v86, v[88:89], v[166:167] offset0:112 offset1:224
	ds_write2_b64 v4, v[168:169], v[170:171] offset0:80 offset1:192
	;; [unrolled: 1-line block ×4, first 2 shown]
	v_mul_f32_e32 v89, v160, v185
	v_fma_f32 v178, v158, v182, -v97
	v_fmac_f32_e32 v179, v159, v182
	v_fma_f32 v88, v160, v184, -v98
	v_fmac_f32_e32 v89, v161, v184
	s_waitcnt vmcnt(5) lgkmcnt(4)
	v_mul_f32_e32 v4, v163, v187
	v_add_u32_e32 v5, 0x2c00, v86
	ds_write2_b64 v7, v[178:179], v[88:89] offset0:112 offset1:224
	v_fma_f32 v88, v162, v186, -v4
	v_mul_f32_e32 v89, v162, v187
	s_waitcnt vmcnt(4)
	v_mul_f32_e32 v4, v165, v189
	ds_read2_b64 v[142:145], v5 offset0:48 offset1:160
	v_mul_f32_e32 v147, v164, v189
	v_fmac_f32_e32 v89, v163, v186
	v_fma_f32 v146, v164, v188, -v4
	v_fmac_f32_e32 v147, v165, v188
	v_add_u32_e32 v6, 0x3400, v86
	ds_write2_b64 v87, v[88:89], v[146:147] offset0:80 offset1:192
	ds_read2_b64 v[146:149], v6 offset0:16 offset1:128
	s_waitcnt vmcnt(3) lgkmcnt(2)
	v_mul_f32_e32 v4, v143, v191
	v_mul_f32_e32 v89, v142, v191
	v_fma_f32 v88, v142, v190, -v4
	v_fmac_f32_e32 v89, v143, v190
	s_waitcnt vmcnt(2)
	v_mul_f32_e32 v4, v145, v193
	v_mul_f32_e32 v143, v144, v193
	v_fma_f32 v142, v144, v192, -v4
	v_fmac_f32_e32 v143, v145, v192
	s_waitcnt vmcnt(1) lgkmcnt(0)
	v_mul_f32_e32 v4, v147, v139
	ds_write2_b64 v5, v[88:89], v[142:143] offset0:48 offset1:160
	v_fma_f32 v88, v146, v138, -v4
	v_mul_f32_e32 v89, v146, v139
	s_waitcnt vmcnt(0)
	v_mul_f32_e32 v4, v149, v195
	v_mul_f32_e32 v139, v148, v195
	v_mov_b64_e32 v[94:95], v[106:107]
	v_mov_b64_e32 v[96:97], v[108:109]
	v_fmac_f32_e32 v89, v147, v138
	v_fma_f32 v138, v148, v194, -v4
	v_fmac_f32_e32 v139, v149, v194
	ds_write2_b64 v6, v[88:89], v[138:139] offset0:16 offset1:128
.LBB0_13:
	s_or_b64 exec, exec, s[0:1]
	s_waitcnt lgkmcnt(0)
	s_barrier
	s_and_saveexec_b64 s[0:1], s[6:7]
	s_cbranch_execz .LBB0_15
; %bb.14:
	v_add_u32_e32 v4, 0x400, v85
	ds_read2_b64 v[56:59], v4 offset0:96 offset1:208
	v_add_u32_e32 v4, 0xc00, v85
	ds_read2_b64 v[60:63], v4 offset0:64 offset1:176
	;; [unrolled: 2-line block ×6, first 2 shown]
	v_add_u32_e32 v4, 0x3000, v85
	ds_read2_b64 v[52:55], v85 offset1:112
	ds_read2_b64 v[80:83], v4 offset0:32 offset1:144
	ds_read_b64 v[140:141], v85 offset:14336
.LBB0_15:
	s_or_b64 exec, exec, s[0:1]
	v_mov_b32_e32 v146, v196
	v_mov_b32_e32 v147, v196
	v_mov_b32_e32 v196, v197
	v_mov_b32_e32 v148, v198
	v_mov_b32_e32 v149, v198
	v_mov_b32_e32 v198, v199
	v_accvgpr_write_b32 a38, v196
	s_waitcnt lgkmcnt(1)
	v_pk_add_f32 v[88:89], v[58:59], v[80:81] neg_lo:[0,1] neg_hi:[0,1]
	v_pk_add_f32 v[194:195], v[58:59], v[80:81]
	v_mov_b32_e32 v150, v200
	v_mov_b32_e32 v151, v200
	v_mov_b32_e32 v200, v201
	v_accvgpr_write_b32 a40, v198
	v_accvgpr_write_b32 a39, v197
	v_mov_b32_e32 v174, v194
	v_mov_b32_e32 v175, v88
	v_mov_b32_e32 v194, v89
	v_pk_add_f32 v[88:89], v[60:61], v[78:79] neg_lo:[0,1] neg_hi:[0,1]
	v_pk_add_f32 v[196:197], v[60:61], v[78:79]
	v_mov_b32_e32 v152, v202
	v_mov_b32_e32 v153, v202
	v_mov_b32_e32 v202, v203
	v_accvgpr_write_b32 a42, v200
	v_accvgpr_write_b32 a41, v199
	v_mov_b32_e32 v176, v196
	v_mov_b32_e32 v177, v88
	v_mov_b32_e32 v196, v89
	;; [unrolled: 10-line block ×3, first 2 shown]
	v_pk_add_f32 v[88:89], v[64:65], v[74:75] neg_lo:[0,1] neg_hi:[0,1]
	v_pk_add_f32 v[200:201], v[64:65], v[74:75]
	v_accvgpr_write_b32 a46, v204
	v_accvgpr_write_b32 a45, v203
	v_mov_b32_e32 v180, v200
	v_mov_b32_e32 v181, v88
	;; [unrolled: 1-line block ×3, first 2 shown]
	v_pk_add_f32 v[88:89], v[66:67], v[72:73] neg_lo:[0,1] neg_hi:[0,1]
	v_pk_add_f32 v[202:203], v[66:67], v[72:73]
	v_accvgpr_write_b32 a47, v205
	s_waitcnt lgkmcnt(0)
	v_pk_add_f32 v[188:189], v[140:141], v[54:55]
	v_pk_add_f32 v[192:193], v[54:55], v[140:141] neg_lo:[0,1] neg_hi:[0,1]
	v_mov_b32_e32 v182, v202
	v_mov_b32_e32 v183, v88
	;; [unrolled: 1-line block ×3, first 2 shown]
	v_pk_add_f32 v[88:89], v[68:69], v[70:71] neg_lo:[0,1] neg_hi:[0,1]
	v_pk_add_f32 v[204:205], v[68:69], v[70:71]
	s_mov_b32 s42, 0xbeb8f4ab
	v_mov_b32_e32 v156, v206
	v_mov_b32_e32 v157, v206
	;; [unrolled: 1-line block ×3, first 2 shown]
	v_pk_add_f32 v[186:187], v[82:83], v[56:57]
	v_pk_add_f32 v[190:191], v[56:57], v[82:83] neg_lo:[0,1] neg_hi:[0,1]
	v_mov_b32_e32 v184, v204
	v_mov_b32_e32 v185, v88
	v_mov_b32_e32 v204, v89
	v_mov_b32_e32 v88, v193
	v_mov_b32_e32 v89, v189
	s_mov_b32 s43, 0x3f6eb680
	s_mov_b32 s58, 0xbf2c7751
	v_accvgpr_write_b32 a48, v206
	v_pk_mul_f32 v[88:89], v[88:89], s[42:43]
	v_mov_b32_e32 v222, v188
	v_mov_b32_e32 v223, v192
	s_mov_b32 s0, s43
	s_mov_b32 s1, s42
	v_mov_b32_e32 v208, v191
	v_mov_b32_e32 v209, v187
	s_mov_b32 s59, 0x3f3d2fb0
	v_accvgpr_write_b32 a49, v207
	v_pk_fma_f32 v[138:139], v[222:223], s[0:1], v[88:89] neg_lo:[0,0,1] neg_hi:[0,0,1]
	v_pk_fma_f32 v[206:207], v[222:223], s[0:1], v[88:89]
	v_pk_mul_f32 v[208:209], v[208:209], s[58:59]
	v_mov_b32_e32 v228, v186
	v_mov_b32_e32 v229, v190
	s_mov_b32 s28, s59
	s_mov_b32 s29, s58
	v_mov_b32_e32 v139, v207
	v_pk_fma_f32 v[214:215], v[228:229], s[28:29], v[208:209] neg_lo:[0,0,1] neg_hi:[0,0,1]
	v_pk_fma_f32 v[210:211], v[228:229], s[28:29], v[208:209]
	s_mov_b32 s62, 0xbf65296c
	v_pk_add_f32 v[138:139], v[52:53], v[138:139]
	v_mov_b32_e32 v215, v211
	s_mov_b32 s63, 0x3ee437d1
	v_pk_add_f32 v[138:139], v[214:215], v[138:139]
	v_pk_mul_f32 v[214:215], v[194:195], s[62:63]
	s_mov_b32 s22, s63
	s_mov_b32 s23, s62
	v_pk_fma_f32 v[218:219], v[174:175], s[22:23], v[214:215] neg_lo:[0,0,1] neg_hi:[0,0,1]
	v_pk_fma_f32 v[216:217], v[174:175], s[22:23], v[214:215]
	s_mov_b32 s56, 0xbf7ee86f
	v_mov_b32_e32 v219, v217
	s_mov_b32 s57, 0x3dbcf732
	v_pk_add_f32 v[138:139], v[218:219], v[138:139]
	v_pk_mul_f32 v[218:219], v[196:197], s[56:57]
	s_mov_b32 s14, s57
	s_mov_b32 s15, s56
	v_pk_fma_f32 v[224:225], v[176:177], s[14:15], v[218:219] neg_lo:[0,0,1] neg_hi:[0,0,1]
	v_pk_fma_f32 v[220:221], v[176:177], s[14:15], v[218:219]
	s_mov_b32 s48, 0xbf763a35
	v_mov_b32_e32 v225, v221
	s_mov_b32 s49, 0xbe8c1d8e
	v_pk_add_f32 v[138:139], v[224:225], v[138:139]
	v_pk_mul_f32 v[224:225], v[198:199], s[48:49]
	s_mov_b32 s40, s49
	s_mov_b32 s41, s48
	v_pk_fma_f32 v[230:231], v[178:179], s[40:41], v[224:225] neg_lo:[0,0,1] neg_hi:[0,0,1]
	v_pk_fma_f32 v[226:227], v[178:179], s[40:41], v[224:225]
	s_mov_b32 s50, 0xbf4c4adb
	v_mov_b32_e32 v231, v227
	s_mov_b32 s51, 0xbf1a4643
	v_pk_add_f32 v[138:139], v[230:231], v[138:139]
	v_pk_mul_f32 v[230:231], v[200:201], s[50:51]
	s_mov_b32 s18, s51
	s_mov_b32 s19, s50
	v_pk_fma_f32 v[234:235], v[180:181], s[18:19], v[230:231] neg_lo:[0,0,1] neg_hi:[0,0,1]
	v_pk_fma_f32 v[232:233], v[180:181], s[18:19], v[230:231]
	s_mov_b32 s52, 0xbf06c442
	v_mov_b32_e32 v235, v233
	s_mov_b32 s53, 0xbf59a7d5
	v_pk_add_f32 v[138:139], v[234:235], v[138:139]
	v_pk_mul_f32 v[234:235], v[202:203], s[52:53]
	s_mov_b32 s26, s53
	s_mov_b32 s27, s52
	v_pk_fma_f32 v[238:239], v[182:183], s[26:27], v[234:235] neg_lo:[0,0,1] neg_hi:[0,0,1]
	v_pk_fma_f32 v[236:237], v[182:183], s[26:27], v[234:235]
	s_mov_b32 s54, 0xbe3c28d5
	v_mov_b32_e32 v239, v237
	s_mov_b32 s55, 0xbf7ba420
	v_pk_add_f32 v[138:139], v[238:239], v[138:139]
	v_pk_mul_f32 v[238:239], v[204:205], s[54:55]
	s_mov_b32 s24, s55
	s_mov_b32 s25, s54
	v_pk_fma_f32 v[244:245], v[184:185], s[24:25], v[238:239] neg_lo:[0,0,1] neg_hi:[0,0,1]
	v_pk_fma_f32 v[240:241], v[184:185], s[24:25], v[238:239]
	v_mov_b32_e32 v172, v242
	v_mov_b32_e32 v245, v241
	;; [unrolled: 1-line block ×31, first 2 shown]
	v_pk_add_f32 v[244:245], v[244:245], v[138:139]
	s_barrier
	s_and_saveexec_b64 s[20:21], s[6:7]
	s_cbranch_execz .LBB0_17
; %bb.16:
	v_pk_add_f32 v[54:55], v[54:55], v[52:53]
	v_pk_mul_f32 v[222:223], v[222:223], s[0:1]
	v_pk_add_f32 v[54:55], v[56:57], v[54:55]
	v_pk_mul_f32 v[228:229], v[228:229], s[28:29]
	v_pk_add_f32 v[54:55], v[58:59], v[54:55]
	v_accvgpr_write_b32 a62, v244
	v_pk_add_f32 v[54:55], v[60:61], v[54:55]
	v_pk_add_f32 v[56:57], v[88:89], v[222:223] neg_lo:[0,1] neg_hi:[0,1]
	v_pk_add_f32 v[54:55], v[62:63], v[54:55]
	v_accvgpr_write_b32 a63, v245
	v_pk_add_f32 v[54:55], v[64:65], v[54:55]
	v_pk_mul_f32 v[244:245], v[174:175], s[22:23]
	v_pk_add_f32 v[54:55], v[66:67], v[54:55]
	v_accvgpr_write_b32 a2, v246
	v_pk_add_f32 v[54:55], v[68:69], v[54:55]
	v_mov_b32_e32 v207, v57
	v_pk_add_f32 v[58:59], v[208:209], v[228:229] neg_lo:[0,1] neg_hi:[0,1]
	v_accvgpr_write_b32 a3, v247
	v_accvgpr_write_b32 a4, v248
	;; [unrolled: 1-line block ×3, first 2 shown]
	v_pk_mul_f32 v[246:247], v[176:177], s[14:15]
	v_pk_add_f32 v[54:55], v[70:71], v[54:55]
	v_pk_add_f32 v[56:57], v[52:53], v[206:207]
	v_mov_b32_e32 v211, v59
	v_pk_add_f32 v[58:59], v[214:215], v[244:245] neg_lo:[0,1] neg_hi:[0,1]
	v_pk_mul_f32 v[248:249], v[178:179], s[40:41]
	v_accvgpr_write_b32 a22, v250
	v_pk_add_f32 v[54:55], v[72:73], v[54:55]
	v_pk_add_f32 v[56:57], v[210:211], v[56:57]
	v_mov_b32_e32 v217, v59
	v_pk_add_f32 v[58:59], v[218:219], v[246:247] neg_lo:[0,1] neg_hi:[0,1]
	v_accvgpr_write_b32 a23, v251
	v_pk_mul_f32 v[250:251], v[180:181], s[18:19]
	v_accvgpr_write_b32 a24, v252
	v_pk_add_f32 v[54:55], v[74:75], v[54:55]
	v_pk_add_f32 v[56:57], v[216:217], v[56:57]
	v_mov_b32_e32 v221, v59
	v_pk_add_f32 v[58:59], v[224:225], v[248:249] neg_lo:[0,1] neg_hi:[0,1]
	v_accvgpr_write_b32 a25, v253
	;; [unrolled: 7-line block ×3, first 2 shown]
	v_pk_mul_f32 v[254:255], v[184:185], s[24:25]
	v_pk_add_f32 v[54:55], v[78:79], v[54:55]
	v_pk_add_f32 v[56:57], v[226:227], v[56:57]
	v_mov_b32_e32 v233, v59
	v_pk_add_f32 v[58:59], v[234:235], v[252:253] neg_lo:[0,1] neg_hi:[0,1]
	v_pk_add_f32 v[54:55], v[80:81], v[54:55]
	v_pk_add_f32 v[56:57], v[232:233], v[56:57]
	v_mov_b32_e32 v237, v59
	v_pk_add_f32 v[58:59], v[238:239], v[254:255] neg_lo:[0,1] neg_hi:[0,1]
	v_accvgpr_write_b32 a20, v242
	v_pk_add_f32 v[54:55], v[82:83], v[54:55]
	v_pk_add_f32 v[56:57], v[236:237], v[56:57]
	v_mov_b32_e32 v241, v59
	v_accvgpr_write_b32 a21, v243
	v_pk_mul_f32 v[242:243], v[192:193], s[58:59] op_sel_hi:[1,0]
	s_mov_b32 s44, s59
	v_lshlrev_b32_e32 v87, 3, v99
	v_pk_add_f32 v[54:55], v[140:141], v[54:55]
	v_pk_add_f32 v[56:57], v[240:241], v[56:57]
	v_accvgpr_write_b32 a0, v212
	v_accvgpr_write_b32 a1, v213
	v_pk_mul_f32 v[212:213], v[190:191], s[56:57] op_sel_hi:[1,0]
	s_mov_b32 s72, s57
	ds_write2_b64 v87, v[54:55], v[56:57] offset1:1
	v_pk_fma_f32 v[54:55], v[188:189], s[44:45], v[242:243] op_sel:[0,0,1] op_sel_hi:[1,0,0]
	v_pk_fma_f32 v[68:69], v[188:189], s[44:45], v[242:243] op_sel:[0,0,1] op_sel_hi:[1,0,0] neg_lo:[0,0,1] neg_hi:[0,0,1]
	v_accvgpr_write_b32 a65, v55
	v_mov_b32_e32 v55, v69
	v_pk_fma_f32 v[56:57], v[186:187], s[72:73], v[212:213] op_sel:[0,0,1] op_sel_hi:[1,0,0]
	v_pk_fma_f32 v[72:73], v[186:187], s[72:73], v[212:213] op_sel:[0,0,1] op_sel_hi:[1,0,0] neg_lo:[0,0,1] neg_hi:[0,0,1]
	v_pk_mul_f32 v[58:59], v[194:195], s[50:51]
	v_pk_add_f32 v[54:55], v[52:53], v[54:55]
	v_accvgpr_write_b32 a67, v57
	v_mov_b32_e32 v57, v73
	s_mov_b32 s31, 0x3f06c442
	v_pk_add_f32 v[54:55], v[56:57], v[54:55]
	v_pk_fma_f32 v[66:67], v[174:175], s[18:19], v[58:59]
	v_pk_fma_f32 v[56:57], v[174:175], s[18:19], v[58:59] neg_lo:[1,0,0] neg_hi:[1,0,0]
	v_pk_mul_f32 v[4:5], v[196:197], s[54:55]
	s_mov_b32 s34, s31
	s_mov_b32 s35, s53
	v_accvgpr_write_b32 a77, v59
	v_mov_b32_e32 v56, v66
	v_pk_mul_f32 v[6:7], v[198:199], s[34:35]
	s_mov_b32 s35, 0x3f763a35
	v_accvgpr_write_b32 a76, v58
	v_pk_add_f32 v[54:55], v[56:57], v[54:55]
	v_pk_fma_f32 v[58:59], v[176:177], s[24:25], v[4:5]
	v_pk_fma_f32 v[56:57], v[176:177], s[24:25], v[4:5] neg_lo:[1,0,0] neg_hi:[1,0,0]
	v_accvgpr_write_b32 a81, v5
	s_mov_b32 s30, s53
	s_mov_b32 s60, s35
	;; [unrolled: 1-line block ×3, first 2 shown]
	v_accvgpr_write_b32 a80, v4
	v_mov_b32_e32 v56, v58
	v_mov_b64_e32 v[4:5], v[6:7]
	v_pk_mul_f32 v[60:61], v[200:201], s[60:61]
	s_mov_b32 s37, 0x3f65296c
	v_pk_add_f32 v[54:55], v[56:57], v[54:55]
	v_pk_fma_f32 v[6:7], v[178:179], s[30:31], v[4:5]
	v_pk_fma_f32 v[56:57], v[178:179], s[30:31], v[4:5] neg_lo:[1,0,0] neg_hi:[1,0,0]
	v_accvgpr_write_b32 a85, v5
	s_mov_b32 s34, s49
	s_mov_b32 s64, s37
	;; [unrolled: 1-line block ×3, first 2 shown]
	v_accvgpr_write_b32 a84, v4
	v_mov_b32_e32 v56, v6
	v_mov_b64_e32 v[4:5], v[60:61]
	v_pk_mul_f32 v[62:63], v[202:203], s[64:65]
	s_mov_b32 s39, 0x3eb8f4ab
	v_accvgpr_write_b32 a73, v7
	v_pk_add_f32 v[54:55], v[56:57], v[54:55]
	v_pk_fma_f32 v[6:7], v[180:181], s[34:35], v[4:5]
	v_pk_fma_f32 v[56:57], v[180:181], s[34:35], v[4:5] neg_lo:[1,0,0] neg_hi:[1,0,0]
	s_mov_b32 s36, s63
	s_mov_b32 s76, s39
	;; [unrolled: 1-line block ×3, first 2 shown]
	v_mov_b32_e32 v56, v6
	v_mov_b64_e32 v[4:5], v[62:63]
	v_pk_mul_f32 v[64:65], v[204:205], s[76:77]
	v_accvgpr_write_b32 a75, v7
	v_pk_add_f32 v[54:55], v[56:57], v[54:55]
	v_pk_fma_f32 v[6:7], v[182:183], s[36:37], v[4:5]
	v_pk_fma_f32 v[56:57], v[182:183], s[36:37], v[4:5] neg_lo:[1,0,0] neg_hi:[1,0,0]
	s_mov_b32 s38, s43
	v_mov_b32_e32 v56, v6
	v_mov_b64_e32 v[4:5], v[64:65]
	v_accvgpr_write_b32 a79, v7
	v_pk_add_f32 v[54:55], v[56:57], v[54:55]
	v_pk_fma_f32 v[6:7], v[184:185], s[38:39], v[4:5]
	v_pk_fma_f32 v[56:57], v[184:185], s[38:39], v[4:5] neg_lo:[1,0,0] neg_hi:[1,0,0]
	s_mov_b32 s68, s63
	v_mov_b32_e32 v56, v6
	v_pk_add_f32 v[54:55], v[56:57], v[54:55]
	v_pk_mul_f32 v[56:57], v[192:193], s[62:63] op_sel_hi:[1,0]
	v_accvgpr_write_b32 a69, v67
	v_accvgpr_write_b32 a71, v59
	s_mov_b32 s74, s51
	v_pk_mul_f32 v[58:59], v[190:191], s[50:51] op_sel_hi:[1,0]
	s_mov_b32 s47, 0x3e3c28d5
	v_pk_fma_f32 v[66:67], v[188:189], s[68:69], v[56:57] op_sel:[0,0,1] op_sel_hi:[1,0,0]
	v_pk_fma_f32 v[220:221], v[188:189], s[68:69], v[56:57] op_sel:[0,0,1] op_sel_hi:[1,0,0] neg_lo:[0,0,1] neg_hi:[0,0,1]
	s_mov_b32 s44, s47
	s_mov_b32 s45, s55
	v_mov_b32_e32 v56, v66
	v_accvgpr_write_b32 a93, v67
	v_mov_b32_e32 v57, v221
	v_pk_fma_f32 v[66:67], v[186:187], s[74:75], v[58:59] op_sel:[0,0,1] op_sel_hi:[1,0,0]
	v_pk_fma_f32 v[224:225], v[186:187], s[74:75], v[58:59] op_sel:[0,0,1] op_sel_hi:[1,0,0] neg_lo:[0,0,1] neg_hi:[0,0,1]
	s_mov_b32 s46, s55
	v_pk_mul_f32 v[216:217], v[194:195], s[44:45]
	v_pk_add_f32 v[56:57], v[52:53], v[56:57]
	v_mov_b32_e32 v58, v66
	v_mov_b32_e32 v59, v225
	v_accvgpr_write_b32 a89, v63
	s_mov_b32 s45, 0x3f2c7751
	v_accvgpr_write_b32 a95, v67
	v_pk_add_f32 v[56:57], v[58:59], v[56:57]
	v_pk_fma_f32 v[66:67], v[174:175], s[46:47], v[216:217]
	v_pk_fma_f32 v[58:59], v[174:175], s[46:47], v[216:217] neg_lo:[1,0,0] neg_hi:[1,0,0]
	v_accvgpr_write_b32 a88, v62
	v_accvgpr_write_b32 a91, v65
	v_pk_mul_f32 v[62:63], v[196:197], s[60:61]
	s_mov_b32 s66, s45
	s_mov_b32 s67, s59
	v_mov_b32_e32 v58, v66
	v_accvgpr_write_b32 a90, v64
	v_pk_mul_f32 v[64:65], v[198:199], s[66:67]
	v_accvgpr_write_b32 a97, v67
	v_pk_add_f32 v[56:57], v[58:59], v[56:57]
	v_pk_fma_f32 v[66:67], v[176:177], s[34:35], v[62:63]
	v_pk_fma_f32 v[58:59], v[176:177], s[34:35], v[62:63] neg_lo:[1,0,0] neg_hi:[1,0,0]
	v_accvgpr_write_b32 a107, v63
	s_mov_b32 s44, s59
	v_accvgpr_write_b32 a106, v62
	v_mov_b32_e32 v58, v66
	v_mov_b64_e32 v[62:63], v[64:65]
	v_accvgpr_write_b32 a87, v61
	v_pk_add_f32 v[56:57], v[58:59], v[56:57]
	v_pk_fma_f32 v[64:65], v[178:179], s[44:45], v[62:63]
	v_pk_fma_f32 v[58:59], v[178:179], s[44:45], v[62:63] neg_lo:[1,0,0] neg_hi:[1,0,0]
	v_accvgpr_write_b32 a86, v60
	v_pk_mul_f32 v[60:61], v[200:201], s[42:43]
	v_accvgpr_write_b32 a111, v63
	v_mov_b32_e32 v58, v64
	v_accvgpr_write_b32 a110, v62
	v_pk_add_f32 v[56:57], v[58:59], v[56:57]
	v_pk_fma_f32 v[62:63], v[180:181], s[0:1], v[60:61]
	v_pk_fma_f32 v[58:59], v[180:181], s[0:1], v[60:61] neg_lo:[1,0,0] neg_hi:[1,0,0]
	v_accvgpr_write_b32 a83, v7
	v_pk_mul_f32 v[6:7], v[202:203], s[56:57]
	v_accvgpr_write_b32 a113, v61
	v_mov_b32_e32 v58, v62
	v_accvgpr_write_b32 a112, v60
	v_pk_add_f32 v[56:57], v[58:59], v[56:57]
	v_pk_fma_f32 v[60:61], v[182:183], s[14:15], v[6:7]
	v_pk_fma_f32 v[58:59], v[182:183], s[14:15], v[6:7] neg_lo:[1,0,0] neg_hi:[1,0,0]
	v_pk_mul_f32 v[4:5], v[204:205], s[52:53]
	v_accvgpr_write_b32 a115, v7
	v_mov_b32_e32 v58, v60
	v_accvgpr_write_b32 a114, v6
	v_pk_add_f32 v[56:57], v[58:59], v[56:57]
	v_pk_fma_f32 v[6:7], v[184:185], s[26:27], v[4:5]
	v_pk_fma_f32 v[58:59], v[184:185], s[26:27], v[4:5] neg_lo:[1,0,0] neg_hi:[1,0,0]
	v_accvgpr_write_b32 a117, v5
	v_mov_b32_e32 v58, v6
	v_pk_add_f32 v[56:57], v[58:59], v[56:57]
	ds_write2_b64 v87, v[54:55], v[56:57] offset0:2 offset1:3
	v_pk_mul_f32 v[54:55], v[192:193], s[56:57] op_sel_hi:[1,0]
	v_accvgpr_write_b32 a116, v4
	s_mov_b32 s70, s55
	v_pk_mul_f32 v[56:57], v[190:191], s[54:55] op_sel_hi:[1,0]
	v_pk_fma_f32 v[4:5], v[188:189], s[72:73], v[54:55] op_sel:[0,0,1] op_sel_hi:[1,0,0]
	v_pk_fma_f32 v[252:253], v[188:189], s[72:73], v[54:55] op_sel:[0,0,1] op_sel_hi:[1,0,0] neg_lo:[0,0,1] neg_hi:[0,0,1]
	v_mov_b32_e32 v54, v4
	v_mov_b32_e32 v221, v5
	;; [unrolled: 1-line block ×3, first 2 shown]
	v_pk_fma_f32 v[4:5], v[186:187], s[70:71], v[56:57] op_sel:[0,0,1] op_sel_hi:[1,0,0]
	v_pk_fma_f32 v[254:255], v[186:187], s[70:71], v[56:57] op_sel:[0,0,1] op_sel_hi:[1,0,0] neg_lo:[0,0,1] neg_hi:[0,0,1]
	v_pk_mul_f32 v[248:249], v[194:195], s[60:61]
	v_pk_add_f32 v[54:55], v[52:53], v[54:55]
	v_mov_b32_e32 v56, v4
	v_mov_b32_e32 v57, v255
	;; [unrolled: 1-line block ×3, first 2 shown]
	v_pk_add_f32 v[54:55], v[56:57], v[54:55]
	v_pk_fma_f32 v[4:5], v[174:175], s[34:35], v[248:249]
	v_pk_fma_f32 v[56:57], v[174:175], s[34:35], v[248:249] neg_lo:[1,0,0] neg_hi:[1,0,0]
	v_pk_mul_f32 v[246:247], v[196:197], s[76:77]
	v_mov_b32_e32 v56, v4
	v_accvgpr_write_b32 a119, v5
	v_pk_add_f32 v[54:55], v[56:57], v[54:55]
	v_pk_fma_f32 v[4:5], v[176:177], s[38:39], v[246:247]
	v_pk_fma_f32 v[56:57], v[176:177], s[38:39], v[246:247] neg_lo:[1,0,0] neg_hi:[1,0,0]
	v_pk_mul_f32 v[244:245], v[198:199], s[62:63]
	v_mov_b32_e32 v56, v4
	v_accvgpr_write_b32 a121, v5
	v_pk_add_f32 v[54:55], v[56:57], v[54:55]
	v_pk_fma_f32 v[4:5], v[178:179], s[22:23], v[244:245]
	v_pk_fma_f32 v[56:57], v[178:179], s[22:23], v[244:245] neg_lo:[1,0,0] neg_hi:[1,0,0]
	v_pk_mul_f32 v[240:241], v[200:201], s[52:53]
	s_mov_b32 s61, 0x3f4c4adb
	v_mov_b32_e32 v56, v4
	s_mov_b32 s76, s61
	s_mov_b32 s77, s51
	v_accvgpr_write_b32 a123, v5
	v_pk_add_f32 v[54:55], v[56:57], v[54:55]
	v_pk_fma_f32 v[4:5], v[180:181], s[26:27], v[240:241]
	v_pk_fma_f32 v[56:57], v[180:181], s[26:27], v[240:241] neg_lo:[1,0,0] neg_hi:[1,0,0]
	s_mov_b32 s60, s51
	v_pk_mul_f32 v[242:243], v[202:203], s[76:77]
	v_mov_b32_e32 v56, v4
	v_accvgpr_write_b32 a125, v5
	v_pk_add_f32 v[54:55], v[56:57], v[54:55]
	v_pk_fma_f32 v[4:5], v[182:183], s[60:61], v[242:243]
	v_pk_fma_f32 v[56:57], v[182:183], s[60:61], v[242:243] neg_lo:[1,0,0] neg_hi:[1,0,0]
	v_pk_mul_f32 v[238:239], v[204:205], s[66:67]
	v_mov_b32_e32 v56, v4
	v_accvgpr_write_b32 a127, v5
	v_pk_add_f32 v[54:55], v[56:57], v[54:55]
	v_pk_fma_f32 v[4:5], v[184:185], s[44:45], v[238:239]
	v_pk_fma_f32 v[56:57], v[184:185], s[44:45], v[238:239] neg_lo:[1,0,0] neg_hi:[1,0,0]
	s_mov_b32 s80, s49
	v_mov_b32_e32 v56, v4
	v_pk_add_f32 v[212:213], v[56:57], v[54:55]
	v_pk_mul_f32 v[56:57], v[192:193], s[48:49] op_sel_hi:[1,0]
	s_mov_b32 s72, s31
	s_mov_b32 s78, s53
	v_pk_mul_f32 v[206:207], v[190:191], s[72:73] op_sel_hi:[1,0]
	v_pk_fma_f32 v[214:215], v[188:189], s[80:81], v[56:57] op_sel:[0,0,1] op_sel_hi:[1,0,0]
	v_pk_fma_f32 v[56:57], v[188:189], s[80:81], v[56:57] op_sel:[0,0,1] op_sel_hi:[1,0,0] neg_lo:[0,0,1] neg_hi:[0,0,1]
	v_mov_b32_e32 v208, v214
	v_mov_b32_e32 v209, v57
	v_pk_fma_f32 v[236:237], v[186:187], s[78:79], v[206:207] op_sel:[0,0,1] op_sel_hi:[1,0,0]
	v_pk_fma_f32 v[230:231], v[186:187], s[78:79], v[206:207] op_sel:[0,0,1] op_sel_hi:[1,0,0] neg_lo:[0,0,1] neg_hi:[0,0,1]
	v_pk_mul_f32 v[228:229], v[194:195], s[66:67]
	v_pk_add_f32 v[208:209], v[52:53], v[208:209]
	v_mov_b32_e32 v206, v236
	v_mov_b32_e32 v207, v231
	v_pk_add_f32 v[206:207], v[206:207], v[208:209]
	v_pk_fma_f32 v[234:235], v[174:175], s[44:45], v[228:229]
	v_pk_fma_f32 v[208:209], v[174:175], s[44:45], v[228:229] neg_lo:[1,0,0] neg_hi:[1,0,0]
	v_pk_mul_f32 v[226:227], v[196:197], s[62:63]
	v_mov_b32_e32 v208, v234
	v_pk_add_f32 v[206:207], v[208:209], v[206:207]
	v_pk_fma_f32 v[232:233], v[176:177], s[22:23], v[226:227]
	v_pk_fma_f32 v[208:209], v[176:177], s[22:23], v[226:227] neg_lo:[1,0,0] neg_hi:[1,0,0]
	v_pk_mul_f32 v[218:219], v[198:199], s[54:55]
	s_mov_b32 s63, 0x3f7ee86f
	v_mov_b32_e32 v208, v232
	s_mov_b32 s72, s63
	s_mov_b32 s73, s57
	v_pk_add_f32 v[206:207], v[208:209], v[206:207]
	v_pk_fma_f32 v[250:251], v[178:179], s[24:25], v[218:219]
	v_pk_fma_f32 v[208:209], v[178:179], s[24:25], v[218:219] neg_lo:[1,0,0] neg_hi:[1,0,0]
	s_mov_b32 s62, s57
	v_pk_mul_f32 v[222:223], v[200:201], s[72:73]
	v_mov_b32_e32 v208, v250
	v_pk_add_f32 v[208:209], v[208:209], v[206:207]
	v_pk_fma_f32 v[206:207], v[180:181], s[62:63], v[222:223]
	v_pk_fma_f32 v[210:211], v[180:181], s[62:63], v[222:223] neg_lo:[1,0,0] neg_hi:[1,0,0]
	v_pk_mul_f32 v[88:89], v[202:203], s[42:43]
	v_mov_b32_e32 v210, v206
	v_pk_add_f32 v[210:211], v[210:211], v[208:209]
	v_pk_fma_f32 v[140:141], v[182:183], s[0:1], v[88:89]
	v_pk_fma_f32 v[208:209], v[182:183], s[0:1], v[88:89] neg_lo:[1,0,0] neg_hi:[1,0,0]
	v_pk_mul_f32 v[80:81], v[204:205], s[50:51]
	v_mov_b32_e32 v208, v140
	v_pk_add_f32 v[208:209], v[208:209], v[210:211]
	v_pk_fma_f32 v[82:83], v[184:185], s[18:19], v[80:81]
	v_pk_fma_f32 v[210:211], v[184:185], s[18:19], v[80:81] neg_lo:[1,0,0] neg_hi:[1,0,0]
	s_mov_b32 s82, s35
	v_mov_b32_e32 v210, v82
	v_pk_add_f32 v[208:209], v[210:211], v[208:209]
	ds_write2_b64 v87, v[212:213], v[208:209] offset0:4 offset1:5
	v_pk_mul_f32 v[208:209], v[192:193], s[50:51] op_sel_hi:[1,0]
	v_pk_mul_f32 v[210:211], v[190:191], s[82:83] op_sel_hi:[1,0]
	v_pk_fma_f32 v[78:79], v[188:189], s[74:75], v[208:209] op_sel:[0,0,1] op_sel_hi:[1,0,0]
	v_pk_fma_f32 v[208:209], v[188:189], s[74:75], v[208:209] op_sel:[0,0,1] op_sel_hi:[1,0,0] neg_lo:[0,0,1] neg_hi:[0,0,1]
	v_mov_b32_e32 v54, v78
	v_mov_b32_e32 v55, v209
	v_pk_fma_f32 v[76:77], v[186:187], s[80:81], v[210:211] op_sel:[0,0,1] op_sel_hi:[1,0,0]
	v_pk_fma_f32 v[210:211], v[186:187], s[80:81], v[210:211] op_sel:[0,0,1] op_sel_hi:[1,0,0] neg_lo:[0,0,1] neg_hi:[0,0,1]
	v_pk_mul_f32 v[212:213], v[194:195], s[42:43]
	v_pk_add_f32 v[54:55], v[52:53], v[54:55]
	v_mov_b32_e32 v58, v76
	v_mov_b32_e32 v59, v211
	v_pk_add_f32 v[54:55], v[58:59], v[54:55]
	v_pk_fma_f32 v[74:75], v[174:175], s[0:1], v[212:213]
	v_pk_fma_f32 v[58:59], v[174:175], s[0:1], v[212:213] neg_lo:[1,0,0] neg_hi:[1,0,0]
	v_pk_mul_f32 v[138:139], v[196:197], s[52:53]
	v_mov_b32_e32 v58, v74
	v_pk_add_f32 v[54:55], v[58:59], v[54:55]
	v_pk_fma_f32 v[70:71], v[176:177], s[26:27], v[138:139]
	v_pk_fma_f32 v[58:59], v[176:177], s[26:27], v[138:139] neg_lo:[1,0,0] neg_hi:[1,0,0]
	v_mov_b32_e32 v73, v137
	v_pk_mul_f32 v[136:137], v[198:199], s[72:73]
	v_mov_b32_e32 v58, v70
	v_accvgpr_write_b32 a99, v67
	v_pk_add_f32 v[54:55], v[58:59], v[54:55]
	v_pk_fma_f32 v[66:67], v[178:179], s[62:63], v[136:137]
	v_pk_fma_f32 v[58:59], v[178:179], s[62:63], v[136:137] neg_lo:[1,0,0] neg_hi:[1,0,0]
	v_pk_mul_f32 v[108:109], v[200:201], s[58:59]
	v_mov_b32_e32 v58, v66
	v_accvgpr_write_b32 a101, v65
	v_pk_add_f32 v[54:55], v[58:59], v[54:55]
	v_pk_fma_f32 v[64:65], v[180:181], s[28:29], v[108:109]
	v_pk_fma_f32 v[58:59], v[180:181], s[28:29], v[108:109] neg_lo:[1,0,0] neg_hi:[1,0,0]
	v_pk_mul_f32 v[106:107], v[202:203], s[54:55]
	v_mov_b32_e32 v58, v64
	v_accvgpr_write_b32 a103, v63
	v_accvgpr_write_b32 a52, v110
	v_pk_add_f32 v[54:55], v[58:59], v[54:55]
	v_pk_fma_f32 v[62:63], v[182:183], s[24:25], v[106:107]
	v_pk_fma_f32 v[58:59], v[182:183], s[24:25], v[106:107] neg_lo:[1,0,0] neg_hi:[1,0,0]
	v_accvgpr_write_b32 a53, v111
	v_pk_mul_f32 v[110:111], v[204:205], s[64:65]
	v_mov_b32_e32 v58, v62
	v_accvgpr_write_b32 a105, v61
	v_pk_add_f32 v[54:55], v[58:59], v[54:55]
	v_pk_fma_f32 v[60:61], v[184:185], s[36:37], v[110:111]
	v_pk_fma_f32 v[58:59], v[184:185], s[36:37], v[110:111] neg_lo:[1,0,0] neg_hi:[1,0,0]
	s_mov_b32 s58, s37
	v_mov_b32_e32 v58, v60
	v_pk_add_f32 v[54:55], v[58:59], v[54:55]
	v_pk_mul_f32 v[58:59], v[192:193], s[52:53] op_sel_hi:[1,0]
	v_pk_mul_f32 v[90:91], v[190:191], s[58:59] op_sel_hi:[1,0]
	v_mov_b32_e32 v4, v112
	v_mov_b32_e32 v70, v113
	v_pk_fma_f32 v[112:113], v[188:189], s[78:79], v[58:59] op_sel:[0,0,1] op_sel_hi:[1,0,0]
	v_pk_fma_f32 v[58:59], v[188:189], s[78:79], v[58:59] op_sel:[0,0,1] op_sel_hi:[1,0,0] neg_lo:[0,0,1] neg_hi:[0,0,1]
	v_accvgpr_write_b32 a8, v116
	v_mov_b32_e32 v66, v104
	v_mov_b32_e32 v104, v112
	;; [unrolled: 1-line block ×4, first 2 shown]
	v_accvgpr_write_b32 a9, v117
	v_pk_fma_f32 v[116:117], v[186:187], s[68:69], v[90:91] op_sel:[0,0,1] op_sel_hi:[1,0,0]
	v_pk_fma_f32 v[90:91], v[186:187], s[68:69], v[90:91] op_sel:[0,0,1] op_sel_hi:[1,0,0] neg_lo:[0,0,1] neg_hi:[0,0,1]
	v_accvgpr_write_b32 a6, v114
	v_pk_mul_f32 v[92:93], v[194:195], s[56:57]
	v_pk_add_f32 v[104:105], v[52:53], v[104:105]
	v_accvgpr_write_b32 a7, v115
	v_mov_b32_e32 v114, v116
	v_mov_b32_e32 v115, v91
	v_accvgpr_write_b32 a10, v118
	v_accvgpr_write_b32 a28, v94
	v_pk_add_f32 v[104:105], v[114:115], v[104:105]
	v_accvgpr_write_b32 a11, v119
	v_pk_fma_f32 v[118:119], v[174:175], s[14:15], v[92:93]
	v_pk_fma_f32 v[114:115], v[174:175], s[14:15], v[92:93] neg_lo:[1,0,0] neg_hi:[1,0,0]
	v_accvgpr_write_b32 a29, v95
	v_pk_mul_f32 v[94:95], v[196:197], s[76:77]
	v_mov_b32_e32 v114, v118
	v_accvgpr_write_b32 a12, v120
	v_accvgpr_write_b32 a30, v96
	v_pk_add_f32 v[104:105], v[114:115], v[104:105]
	v_accvgpr_write_b32 a13, v121
	v_pk_fma_f32 v[120:121], v[176:177], s[60:61], v[94:95]
	v_pk_fma_f32 v[114:115], v[176:177], s[60:61], v[94:95] neg_lo:[1,0,0] neg_hi:[1,0,0]
	v_accvgpr_write_b32 a31, v97
	v_pk_mul_f32 v[96:97], v[198:199], s[42:43]
	v_mov_b32_e32 v114, v120
	v_accvgpr_write_b32 a14, v122
	v_pk_add_f32 v[104:105], v[114:115], v[104:105]
	v_accvgpr_write_b32 a15, v123
	v_pk_fma_f32 v[122:123], v[178:179], s[0:1], v[96:97]
	v_pk_fma_f32 v[114:115], v[178:179], s[0:1], v[96:97] neg_lo:[1,0,0] neg_hi:[1,0,0]
	v_pk_mul_f32 v[98:99], v[200:201], s[54:55]
	v_mov_b32_e32 v114, v122
	v_accvgpr_write_b32 a16, v124
	v_pk_add_f32 v[104:105], v[114:115], v[104:105]
	v_accvgpr_write_b32 a17, v125
	v_pk_fma_f32 v[124:125], v[180:181], s[24:25], v[98:99]
	v_pk_fma_f32 v[114:115], v[180:181], s[24:25], v[98:99] neg_lo:[1,0,0] neg_hi:[1,0,0]
	v_mov_b32_e32 v57, v100
	v_mov_b32_e32 v60, v101
	v_pk_mul_f32 v[100:101], v[202:203], s[66:67]
	v_mov_b32_e32 v114, v124
	v_accvgpr_write_b32 a18, v126
	v_pk_add_f32 v[104:105], v[114:115], v[104:105]
	v_accvgpr_write_b32 a19, v127
	v_pk_fma_f32 v[126:127], v[182:183], s[44:45], v[100:101]
	v_pk_fma_f32 v[114:115], v[182:183], s[44:45], v[100:101] neg_lo:[1,0,0] neg_hi:[1,0,0]
	v_mov_b32_e32 v62, v102
	v_mov_b32_e32 v64, v103
	v_pk_mul_f32 v[102:103], v[204:205], s[48:49]
	v_mov_b32_e32 v114, v126
	v_accvgpr_write_b32 a54, v128
	v_pk_add_f32 v[104:105], v[114:115], v[104:105]
	v_accvgpr_write_b32 a55, v129
	v_pk_fma_f32 v[128:129], v[184:185], s[40:41], v[102:103]
	v_pk_fma_f32 v[114:115], v[184:185], s[40:41], v[102:103] neg_lo:[1,0,0] neg_hi:[1,0,0]
	s_mov_b32 s42, s43
	v_mov_b32_e32 v114, v128
	v_pk_add_f32 v[104:105], v[114:115], v[104:105]
	ds_write2_b64 v87, v[54:55], v[104:105] offset0:6 offset1:7
	v_pk_mul_f32 v[54:55], v[192:193], s[54:55] op_sel_hi:[1,0]
	s_mov_b32 s54, s39
	v_pk_mul_f32 v[104:105], v[190:191], s[54:55] op_sel_hi:[1,0]
	v_pk_mul_f32 v[114:115], v[194:195], s[52:53]
	v_pk_mul_f32 v[194:195], v[200:201], s[64:65]
	v_pk_fma_f32 v[200:201], v[188:189], s[70:71], v[54:55] op_sel:[0,0,1] op_sel_hi:[1,0,0]
	v_pk_fma_f32 v[54:55], v[188:189], s[70:71], v[54:55] op_sel:[0,0,1] op_sel_hi:[1,0,0] neg_lo:[0,0,1] neg_hi:[0,0,1]
	v_pk_mul_f32 v[190:191], v[196:197], s[66:67]
	v_pk_mul_f32 v[196:197], v[202:203], s[48:49]
	v_mov_b32_e32 v188, v200
	v_mov_b32_e32 v189, v55
	v_pk_fma_f32 v[202:203], v[186:187], s[42:43], v[104:105] op_sel:[0,0,1] op_sel_hi:[1,0,0]
	v_pk_fma_f32 v[104:105], v[186:187], s[42:43], v[104:105] op_sel:[0,0,1] op_sel_hi:[1,0,0] neg_lo:[0,0,1] neg_hi:[0,0,1]
	v_mov_b32_e32 v55, v201
	v_pk_add_f32 v[188:189], v[52:53], v[188:189]
	v_mov_b32_e32 v186, v202
	v_mov_b32_e32 v187, v105
	v_pk_add_f32 v[54:55], v[52:53], v[54:55]
	v_mov_b32_e32 v105, v203
	v_pk_mul_f32 v[192:193], v[198:199], s[50:51]
	v_pk_mul_f32 v[198:199], v[204:205], s[72:73]
	v_pk_add_f32 v[186:187], v[186:187], v[188:189]
	v_pk_fma_f32 v[188:189], v[174:175], s[26:27], v[114:115]
	v_pk_fma_f32 v[204:205], v[174:175], s[26:27], v[114:115] neg_lo:[1,0,0] neg_hi:[1,0,0]
	v_pk_add_f32 v[54:55], v[104:105], v[54:55]
	v_pk_fma_f32 v[104:105], v[174:175], s[26:27], v[114:115] neg_lo:[0,0,1] neg_hi:[0,0,1]
	v_mov_b32_e32 v204, v188
	v_accvgpr_write_b32 a56, v130
	v_mov_b32_e32 v105, v189
	v_pk_add_f32 v[186:187], v[204:205], v[186:187]
	v_accvgpr_write_b32 a57, v131
	v_pk_fma_f32 v[130:131], v[176:177], s[44:45], v[190:191]
	v_pk_fma_f32 v[204:205], v[176:177], s[44:45], v[190:191] neg_lo:[1,0,0] neg_hi:[1,0,0]
	v_pk_add_f32 v[54:55], v[104:105], v[54:55]
	v_pk_fma_f32 v[104:105], v[176:177], s[44:45], v[190:191] neg_lo:[0,0,1] neg_hi:[0,0,1]
	v_mov_b32_e32 v204, v130
	v_mov_b32_e32 v105, v131
	v_pk_add_f32 v[186:187], v[204:205], v[186:187]
	v_mov_b32_e32 v59, v133
	v_pk_fma_f32 v[132:133], v[178:179], s[18:19], v[192:193]
	v_pk_fma_f32 v[204:205], v[178:179], s[18:19], v[192:193] neg_lo:[1,0,0] neg_hi:[1,0,0]
	v_pk_add_f32 v[54:55], v[104:105], v[54:55]
	v_pk_fma_f32 v[104:105], v[178:179], s[18:19], v[192:193] neg_lo:[0,0,1] neg_hi:[0,0,1]
	v_mov_b32_e32 v204, v132
	v_accvgpr_write_b32 a58, v134
	v_mov_b32_e32 v105, v133
	v_pk_add_f32 v[186:187], v[204:205], v[186:187]
	v_accvgpr_write_b32 a59, v135
	v_pk_fma_f32 v[134:135], v[180:181], s[36:37], v[194:195]
	v_pk_fma_f32 v[204:205], v[180:181], s[36:37], v[194:195] neg_lo:[1,0,0] neg_hi:[1,0,0]
	v_pk_add_f32 v[54:55], v[104:105], v[54:55]
	v_pk_fma_f32 v[104:105], v[180:181], s[36:37], v[194:195] neg_lo:[0,0,1] neg_hi:[0,0,1]
	v_mov_b32_e32 v204, v134
	v_mov_b32_e32 v105, v135
	v_accvgpr_write_b32 a129, v5
	v_mov_b32_e32 v112, v4
	v_pk_add_f32 v[186:187], v[204:205], v[186:187]
	v_pk_fma_f32 v[4:5], v[182:183], s[40:41], v[196:197]
	v_pk_fma_f32 v[204:205], v[182:183], s[40:41], v[196:197] neg_lo:[1,0,0] neg_hi:[1,0,0]
	v_pk_add_f32 v[54:55], v[104:105], v[54:55]
	v_pk_fma_f32 v[104:105], v[182:183], s[40:41], v[196:197] neg_lo:[0,0,1] neg_hi:[0,0,1]
	v_mov_b32_e32 v204, v4
	v_mov_b32_e32 v105, v5
	v_accvgpr_write_b32 a109, v7
	v_pk_add_f32 v[6:7], v[204:205], v[186:187]
	v_pk_fma_f32 v[186:187], v[184:185], s[62:63], v[198:199]
	v_pk_fma_f32 v[204:205], v[184:185], s[62:63], v[198:199] neg_lo:[1,0,0] neg_hi:[1,0,0]
	v_pk_add_f32 v[4:5], v[104:105], v[54:55]
	v_pk_fma_f32 v[54:55], v[184:185], s[62:63], v[198:199] neg_lo:[0,0,1] neg_hi:[0,0,1]
	v_mov_b32_e32 v204, v186
	v_mov_b32_e32 v55, v187
	v_pk_add_f32 v[6:7], v[204:205], v[6:7]
	v_mov_b32_e32 v133, v59
	v_pk_add_f32 v[4:5], v[54:55], v[4:5]
	v_mov_b32_e32 v59, v113
	ds_write2_b64 v87, v[6:7], v[4:5] offset0:8 offset1:9
	v_pk_add_f32 v[4:5], v[52:53], v[58:59]
	v_mov_b32_e32 v91, v117
	v_pk_fma_f32 v[6:7], v[174:175], s[14:15], v[92:93] neg_lo:[0,0,1] neg_hi:[0,0,1]
	v_pk_add_f32 v[4:5], v[90:91], v[4:5]
	v_mov_b32_e32 v7, v119
	v_pk_add_f32 v[4:5], v[6:7], v[4:5]
	v_pk_fma_f32 v[6:7], v[176:177], s[60:61], v[94:95] neg_lo:[0,0,1] neg_hi:[0,0,1]
	v_mov_b32_e32 v209, v79
	v_mov_b32_e32 v7, v121
	v_pk_add_f32 v[4:5], v[6:7], v[4:5]
	v_pk_fma_f32 v[6:7], v[178:179], s[0:1], v[96:97] neg_lo:[0,0,1] neg_hi:[0,0,1]
	v_mov_b32_e32 v211, v77
	v_mov_b32_e32 v7, v123
	v_pk_add_f32 v[4:5], v[6:7], v[4:5]
	v_pk_fma_f32 v[6:7], v[180:181], s[24:25], v[98:99] neg_lo:[0,0,1] neg_hi:[0,0,1]
	v_pk_fma_f32 v[54:55], v[174:175], s[0:1], v[212:213] neg_lo:[0,0,1] neg_hi:[0,0,1]
	v_mov_b32_e32 v7, v125
	v_pk_add_f32 v[4:5], v[6:7], v[4:5]
	v_pk_fma_f32 v[6:7], v[182:183], s[44:45], v[100:101] neg_lo:[0,0,1] neg_hi:[0,0,1]
	v_mov_b32_e32 v55, v75
	v_mov_b32_e32 v7, v127
	v_pk_add_f32 v[4:5], v[6:7], v[4:5]
	v_pk_fma_f32 v[6:7], v[184:185], s[40:41], v[102:103] neg_lo:[0,0,1] neg_hi:[0,0,1]
	v_mov_b32_e32 v100, v57
	v_mov_b32_e32 v7, v129
	v_pk_add_f32 v[4:5], v[6:7], v[4:5]
	v_pk_add_f32 v[6:7], v[52:53], v[208:209]
	v_mov_b32_e32 v57, v215
	v_pk_add_f32 v[6:7], v[210:211], v[6:7]
	v_mov_b32_e32 v231, v237
	v_pk_add_f32 v[6:7], v[54:55], v[6:7]
	v_pk_fma_f32 v[54:55], v[176:177], s[26:27], v[138:139] neg_lo:[0,0,1] neg_hi:[0,0,1]
	v_mov_b32_e32 v253, v221
	v_mov_b32_e32 v55, v71
	v_pk_add_f32 v[6:7], v[54:55], v[6:7]
	v_pk_fma_f32 v[54:55], v[178:179], s[62:63], v[136:137] neg_lo:[0,0,1] neg_hi:[0,0,1]
	v_mov_b32_e32 v255, v225
	v_mov_b32_e32 v55, v67
	v_pk_add_f32 v[6:7], v[54:55], v[6:7]
	v_pk_fma_f32 v[54:55], v[180:181], s[28:29], v[108:109] neg_lo:[0,0,1] neg_hi:[0,0,1]
	v_accvgpr_read_b32 v221, a93
	v_mov_b32_e32 v55, v65
	v_pk_add_f32 v[6:7], v[54:55], v[6:7]
	v_pk_fma_f32 v[54:55], v[182:183], s[24:25], v[106:107] neg_lo:[0,0,1] neg_hi:[0,0,1]
	v_accvgpr_read_b32 v225, a95
	v_mov_b32_e32 v55, v63
	v_pk_add_f32 v[6:7], v[54:55], v[6:7]
	v_pk_fma_f32 v[54:55], v[184:185], s[36:37], v[110:111] neg_lo:[0,0,1] neg_hi:[0,0,1]
	v_mov_b32_e32 v105, v69
	v_mov_b32_e32 v55, v61
	v_pk_add_f32 v[6:7], v[54:55], v[6:7]
	ds_write2_b64 v87, v[4:5], v[6:7] offset0:10 offset1:11
	v_pk_add_f32 v[4:5], v[52:53], v[56:57]
	v_pk_fma_f32 v[6:7], v[174:175], s[44:45], v[228:229] neg_lo:[0,0,1] neg_hi:[0,0,1]
	v_pk_add_f32 v[4:5], v[230:231], v[4:5]
	v_mov_b32_e32 v7, v235
	v_pk_add_f32 v[4:5], v[6:7], v[4:5]
	v_pk_fma_f32 v[6:7], v[176:177], s[22:23], v[226:227] neg_lo:[0,0,1] neg_hi:[0,0,1]
	v_pk_fma_f32 v[54:55], v[174:175], s[34:35], v[248:249] neg_lo:[0,0,1] neg_hi:[0,0,1]
	v_mov_b32_e32 v7, v233
	v_pk_add_f32 v[4:5], v[6:7], v[4:5]
	v_pk_fma_f32 v[6:7], v[178:179], s[24:25], v[218:219] neg_lo:[0,0,1] neg_hi:[0,0,1]
	v_accvgpr_read_b32 v55, a119
	v_mov_b32_e32 v7, v251
	v_pk_add_f32 v[4:5], v[6:7], v[4:5]
	v_pk_fma_f32 v[6:7], v[180:181], s[62:63], v[222:223] neg_lo:[0,0,1] neg_hi:[0,0,1]
	v_accvgpr_read_b32 v69, a65
	v_mov_b32_e32 v7, v207
	v_pk_add_f32 v[4:5], v[6:7], v[4:5]
	v_pk_fma_f32 v[6:7], v[182:183], s[0:1], v[88:89] neg_lo:[0,0,1] neg_hi:[0,0,1]
	v_mov_b32_e32 v137, v73
	v_mov_b32_e32 v7, v141
	v_pk_add_f32 v[4:5], v[6:7], v[4:5]
	v_pk_fma_f32 v[6:7], v[184:185], s[18:19], v[80:81] neg_lo:[0,0,1] neg_hi:[0,0,1]
	v_accvgpr_read_b32 v73, a67
	v_mov_b32_e32 v7, v83
	v_pk_add_f32 v[4:5], v[6:7], v[4:5]
	v_pk_add_f32 v[6:7], v[52:53], v[252:253]
	v_accvgpr_read_b32 v115, a7
	v_pk_add_f32 v[6:7], v[254:255], v[6:7]
	v_accvgpr_read_b32 v131, a57
	v_pk_add_f32 v[6:7], v[54:55], v[6:7]
	v_pk_fma_f32 v[54:55], v[176:177], s[38:39], v[246:247] neg_lo:[0,0,1] neg_hi:[0,0,1]
	v_accvgpr_read_b32 v135, a59
	v_accvgpr_read_b32 v55, a121
	v_pk_add_f32 v[6:7], v[54:55], v[6:7]
	v_pk_fma_f32 v[54:55], v[178:179], s[22:23], v[244:245] neg_lo:[0,0,1] neg_hi:[0,0,1]
	v_accvgpr_read_b32 v117, a9
	;; [unrolled: 4-line block ×5, first 2 shown]
	v_accvgpr_read_b32 v55, a129
	v_pk_add_f32 v[6:7], v[54:55], v[6:7]
	ds_write2_b64 v87, v[4:5], v[6:7] offset0:12 offset1:13
	v_pk_add_f32 v[4:5], v[52:53], v[220:221]
	v_pk_fma_f32 v[6:7], v[174:175], s[46:47], v[216:217] neg_lo:[0,0,1] neg_hi:[0,0,1]
	v_pk_add_f32 v[4:5], v[224:225], v[4:5]
	v_accvgpr_read_b32 v7, a97
	v_pk_add_f32 v[4:5], v[6:7], v[4:5]
	v_accvgpr_read_b32 v6, a106
	v_accvgpr_read_b32 v7, a107
	v_pk_fma_f32 v[6:7], v[176:177], s[34:35], v[6:7] neg_lo:[0,0,1] neg_hi:[0,0,1]
	v_accvgpr_read_b32 v97, a31
	v_accvgpr_read_b32 v7, a99
	v_pk_add_f32 v[4:5], v[6:7], v[4:5]
	v_accvgpr_read_b32 v6, a110
	v_accvgpr_read_b32 v7, a111
	v_pk_fma_f32 v[6:7], v[178:179], s[44:45], v[6:7] neg_lo:[0,0,1] neg_hi:[0,0,1]
	v_accvgpr_read_b32 v123, a15
	;; [unrolled: 6-line block ×5, first 2 shown]
	v_accvgpr_read_b32 v7, a109
	v_pk_add_f32 v[4:5], v[6:7], v[4:5]
	v_pk_add_f32 v[6:7], v[52:53], v[68:69]
	v_accvgpr_read_b32 v52, a76
	v_accvgpr_read_b32 v53, a77
	v_pk_fma_f32 v[52:53], v[174:175], s[18:19], v[52:53] neg_lo:[0,0,1] neg_hi:[0,0,1]
	v_pk_add_f32 v[6:7], v[72:73], v[6:7]
	v_accvgpr_read_b32 v53, a69
	v_pk_add_f32 v[6:7], v[52:53], v[6:7]
	v_accvgpr_read_b32 v52, a80
	v_accvgpr_read_b32 v53, a81
	v_pk_fma_f32 v[52:53], v[176:177], s[24:25], v[52:53] neg_lo:[0,0,1] neg_hi:[0,0,1]
	v_accvgpr_read_b32 v111, a53
	v_accvgpr_read_b32 v53, a71
	v_pk_add_f32 v[6:7], v[52:53], v[6:7]
	v_accvgpr_read_b32 v52, a84
	v_accvgpr_read_b32 v53, a85
	v_pk_fma_f32 v[52:53], v[178:179], s[30:31], v[52:53] neg_lo:[0,0,1] neg_hi:[0,0,1]
	v_accvgpr_read_b32 v251, a23
	v_accvgpr_read_b32 v53, a73
	v_pk_add_f32 v[6:7], v[52:53], v[6:7]
	v_accvgpr_read_b32 v52, a86
	v_accvgpr_read_b32 v53, a87
	v_pk_fma_f32 v[52:53], v[180:181], s[34:35], v[52:53] neg_lo:[0,0,1] neg_hi:[0,0,1]
	v_accvgpr_read_b32 v253, a25
	v_accvgpr_read_b32 v53, a75
	v_pk_add_f32 v[6:7], v[52:53], v[6:7]
	v_accvgpr_read_b32 v52, a88
	v_accvgpr_read_b32 v53, a89
	v_pk_fma_f32 v[52:53], v[182:183], s[36:37], v[52:53] neg_lo:[0,0,1] neg_hi:[0,0,1]
	v_accvgpr_read_b32 v255, a27
	v_accvgpr_read_b32 v53, a79
	v_pk_add_f32 v[6:7], v[52:53], v[6:7]
	v_accvgpr_read_b32 v52, a90
	v_accvgpr_read_b32 v53, a91
	v_pk_fma_f32 v[52:53], v[184:185], s[38:39], v[52:53] neg_lo:[0,0,1] neg_hi:[0,0,1]
	v_accvgpr_read_b32 v249, a5
	v_accvgpr_read_b32 v245, a63
	v_accvgpr_read_b32 v243, a21
	;; [unrolled: 1-line block ×6, first 2 shown]
	v_mov_b32_e32 v104, v66
	v_mov_b32_e32 v113, v70
	v_accvgpr_read_b32 v116, a8
	v_accvgpr_read_b32 v118, a10
	;; [unrolled: 1-line block ×7, first 2 shown]
	v_mov_b32_e32 v101, v60
	v_accvgpr_read_b32 v126, a18
	v_mov_b32_e32 v103, v64
	v_mov_b32_e32 v102, v62
	v_accvgpr_read_b32 v128, a54
	v_accvgpr_read_b32 v213, a1
	;; [unrolled: 1-line block ×12, first 2 shown]
	v_pk_add_f32 v[6:7], v[52:53], v[6:7]
	ds_write2_b64 v87, v[4:5], v[6:7] offset0:14 offset1:15
	ds_write_b64 v87, a[62:63] offset:128
.LBB0_17:
	s_or_b64 exec, exec, s[20:21]
	v_add_u32_e32 v87, 0x3000, v85
	s_waitcnt lgkmcnt(0)
	s_barrier
	ds_read2_b64 v[52:55], v87 offset0:130 offset1:249
	v_add_u32_e32 v88, 0x1400, v85
	ds_read2_b64 v[56:59], v88 offset0:74 offset1:193
	v_add_u32_e32 v89, 0x2c00, v85
	v_add_u32_e32 v90, 0xc00, v85
	s_waitcnt lgkmcnt(1)
	v_pk_mul_f32 v[4:5], v[242:243], v[54:55]
	v_add_u32_e32 v91, 0x2400, v85
	v_pk_fma_f32 v[6:7], v[172:173], v[54:55], v[4:5] op_sel:[0,0,1] op_sel_hi:[1,1,0]
	v_pk_fma_f32 v[4:5], v[172:173], v[54:55], v[4:5] op_sel:[0,0,1] op_sel_hi:[1,1,0] neg_lo:[0,0,1] neg_hi:[0,0,1]
	v_add_u32_e32 v92, 0x400, v85
	v_mov_b32_e32 v7, v5
	s_waitcnt lgkmcnt(0)
	v_pk_add_f32 v[4:5], v[58:59], v[6:7] neg_lo:[0,1] neg_hi:[0,1]
	v_pk_mul_f32 v[6:7], v[126:127], v[52:53]
	v_add_u32_e32 v93, 0x1c00, v85
	v_pk_fma_f32 v[60:61], v[170:171], v[52:53], v[6:7] op_sel:[0,0,1] op_sel_hi:[1,1,0]
	v_pk_fma_f32 v[6:7], v[170:171], v[52:53], v[6:7] op_sel:[0,0,1] op_sel_hi:[1,1,0] neg_lo:[0,0,1] neg_hi:[0,0,1]
	ds_read2_b64 v[52:55], v89 offset0:20 offset1:139
	v_mov_b32_e32 v61, v7
	v_pk_add_f32 v[6:7], v[56:57], v[60:61] neg_lo:[0,1] neg_hi:[0,1]
	ds_read2_b64 v[60:63], v90 offset0:92 offset1:211
	s_waitcnt lgkmcnt(1)
	v_pk_mul_f32 v[64:65], v[122:123], v[54:55]
	s_nop 0
	v_pk_fma_f32 v[66:67], v[168:169], v[54:55], v[64:65] op_sel:[0,0,1] op_sel_hi:[1,1,0]
	v_pk_fma_f32 v[54:55], v[168:169], v[54:55], v[64:65] op_sel:[0,0,1] op_sel_hi:[1,1,0] neg_lo:[0,0,1] neg_hi:[0,0,1]
	s_nop 0
	v_mov_b32_e32 v67, v55
	v_pk_mul_f32 v[54:55], v[124:125], v[52:53]
	s_waitcnt lgkmcnt(0)
	v_pk_add_f32 v[72:73], v[62:63], v[66:67] neg_lo:[0,1] neg_hi:[0,1]
	v_pk_fma_f32 v[64:65], v[166:167], v[52:53], v[54:55] op_sel:[0,0,1] op_sel_hi:[1,1,0]
	v_pk_fma_f32 v[66:67], v[166:167], v[52:53], v[54:55] op_sel:[0,0,1] op_sel_hi:[1,1,0] neg_lo:[0,0,1] neg_hi:[0,0,1]
	ds_read2_b64 v[52:55], v91 offset0:38 offset1:157
	v_mov_b32_e32 v65, v67
	v_pk_add_f32 v[74:75], v[60:61], v[64:65] neg_lo:[0,1] neg_hi:[0,1]
	ds_read2_b64 v[64:67], v92 offset0:110 offset1:229
	s_waitcnt lgkmcnt(1)
	v_pk_mul_f32 v[68:69], v[120:121], v[54:55]
	s_nop 0
	v_pk_fma_f32 v[70:71], v[164:165], v[54:55], v[68:69] op_sel:[0,0,1] op_sel_hi:[1,1,0]
	v_pk_fma_f32 v[54:55], v[164:165], v[54:55], v[68:69] op_sel:[0,0,1] op_sel_hi:[1,1,0] neg_lo:[0,0,1] neg_hi:[0,0,1]
                                        ; implicit-def: $vgpr120_vgpr121
	s_nop 0
	v_mov_b32_e32 v71, v55
	s_waitcnt lgkmcnt(0)
	v_pk_add_f32 v[76:77], v[66:67], v[70:71] neg_lo:[0,1] neg_hi:[0,1]
	ds_read2_b64 v[68:71], v93 offset0:56 offset1:175
	v_pk_mul_f32 v[54:55], v[118:119], v[52:53]
                                        ; implicit-def: $vgpr118_vgpr119
	s_waitcnt lgkmcnt(0)
	v_pk_mul_f32 v[80:81], v[116:117], v[70:71]
	v_pk_fma_f32 v[78:79], v[162:163], v[52:53], v[54:55] op_sel:[0,0,1] op_sel_hi:[1,1,0]
	v_pk_fma_f32 v[52:53], v[162:163], v[52:53], v[54:55] op_sel:[0,0,1] op_sel_hi:[1,1,0] neg_lo:[0,0,1] neg_hi:[0,0,1]
	v_pk_fma_f32 v[82:83], v[160:161], v[70:71], v[80:81] op_sel:[0,0,1] op_sel_hi:[1,1,0]
	v_mov_b32_e32 v79, v53
	ds_read2_b64 v[52:55], v85 offset1:119
	v_pk_fma_f32 v[70:71], v[160:161], v[70:71], v[80:81] op_sel:[0,0,1] op_sel_hi:[1,1,0] neg_lo:[0,0,1] neg_hi:[0,0,1]
	v_pk_mul_f32 v[80:81], v[114:115], v[68:69]
	v_mov_b32_e32 v83, v71
	v_pk_add_f32 v[78:79], v[64:65], v[78:79] neg_lo:[0,1] neg_hi:[0,1]
	s_waitcnt lgkmcnt(0)
	v_pk_add_f32 v[70:71], v[54:55], v[82:83] neg_lo:[0,1] neg_hi:[0,1]
	v_pk_fma_f32 v[82:83], v[158:159], v[68:69], v[80:81] op_sel:[0,0,1] op_sel_hi:[1,1,0]
	v_pk_fma_f32 v[68:69], v[158:159], v[68:69], v[80:81] op_sel:[0,0,1] op_sel_hi:[1,1,0] neg_lo:[0,0,1] neg_hi:[0,0,1]
	v_pk_fma_f32 v[54:55], v[54:55], 2.0, v[70:71] op_sel_hi:[1,0,1] neg_lo:[0,0,1] neg_hi:[0,0,1]
	v_mov_b32_e32 v83, v69
	v_pk_add_f32 v[68:69], v[52:53], v[82:83] neg_lo:[0,1] neg_hi:[0,1]
	s_nop 0
	v_pk_fma_f32 v[52:53], v[52:53], 2.0, v[68:69] op_sel_hi:[1,0,1] neg_lo:[0,0,1] neg_hi:[0,0,1]
	s_barrier
	ds_write2_b64 v100, v[52:53], v[68:69] offset1:17
	ds_write2_b64 v101, v[54:55], v[70:71] offset1:17
	v_pk_fma_f32 v[52:53], v[64:65], 2.0, v[78:79] op_sel_hi:[1,0,1] neg_lo:[0,0,1] neg_hi:[0,0,1]
	ds_write2_b64 v102, v[52:53], v[78:79] offset1:17
	v_pk_fma_f32 v[52:53], v[66:67], 2.0, v[76:77] op_sel_hi:[1,0,1] neg_lo:[0,0,1] neg_hi:[0,0,1]
	;; [unrolled: 2-line block ×6, first 2 shown]
	ds_write2_b64 v113, v[6:7], v[4:5] offset1:17
	s_waitcnt lgkmcnt(0)
	s_barrier
	ds_read2_b64 v[52:55], v87 offset0:130 offset1:249
	ds_read2_b64 v[56:59], v88 offset0:74 offset1:193
	v_accvgpr_read_b32 v4, a48
	v_accvgpr_read_b32 v5, a49
	s_waitcnt lgkmcnt(1)
	v_pk_mul_f32 v[4:5], v[4:5], v[54:55]
	s_nop 0
	v_pk_fma_f32 v[6:7], v[156:157], v[54:55], v[4:5] op_sel:[0,0,1] op_sel_hi:[1,1,0]
	v_pk_fma_f32 v[4:5], v[156:157], v[54:55], v[4:5] op_sel:[0,0,1] op_sel_hi:[1,1,0] neg_lo:[0,0,1] neg_hi:[0,0,1]
	s_nop 0
	v_mov_b32_e32 v7, v5
	v_accvgpr_read_b32 v4, a46
	s_waitcnt lgkmcnt(0)
	v_pk_add_f32 v[82:83], v[58:59], v[6:7] neg_lo:[0,1] neg_hi:[0,1]
	v_accvgpr_read_b32 v5, a47
	v_pk_fma_f32 v[80:81], v[58:59], 2.0, v[82:83] op_sel_hi:[1,0,1] neg_lo:[0,0,1] neg_hi:[0,0,1]
	v_pk_mul_f32 v[4:5], v[4:5], v[52:53]
	ds_read2_b64 v[58:61], v89 offset0:20 offset1:139
	v_pk_fma_f32 v[6:7], v[154:155], v[52:53], v[4:5] op_sel:[0,0,1] op_sel_hi:[1,1,0]
	v_pk_fma_f32 v[4:5], v[154:155], v[52:53], v[4:5] op_sel:[0,0,1] op_sel_hi:[1,1,0] neg_lo:[0,0,1] neg_hi:[0,0,1]
	ds_read2_b64 v[52:55], v90 offset0:92 offset1:211
	v_mov_b32_e32 v7, v5
	v_pk_add_f32 v[4:5], v[56:57], v[6:7] neg_lo:[0,1] neg_hi:[0,1]
	v_accvgpr_read_b32 v6, a44
	v_accvgpr_read_b32 v7, a45
	s_waitcnt lgkmcnt(1)
	v_pk_mul_f32 v[6:7], v[6:7], v[60:61]
	s_nop 0
	v_pk_fma_f32 v[62:63], v[152:153], v[60:61], v[6:7] op_sel:[0,0,1] op_sel_hi:[1,1,0]
	v_pk_fma_f32 v[6:7], v[152:153], v[60:61], v[6:7] op_sel:[0,0,1] op_sel_hi:[1,1,0] neg_lo:[0,0,1] neg_hi:[0,0,1]
	v_accvgpr_read_b32 v61, a43
	v_mov_b32_e32 v63, v7
	v_accvgpr_read_b32 v60, a42
	s_waitcnt lgkmcnt(0)
	v_pk_add_f32 v[6:7], v[54:55], v[62:63] neg_lo:[0,1] neg_hi:[0,1]
	v_pk_mul_f32 v[64:65], v[60:61], v[58:59]
	ds_read2_b64 v[60:63], v91 offset0:38 offset1:157
	v_pk_fma_f32 v[66:67], v[150:151], v[58:59], v[64:65] op_sel:[0,0,1] op_sel_hi:[1,1,0]
	v_pk_fma_f32 v[58:59], v[150:151], v[58:59], v[64:65] op_sel:[0,0,1] op_sel_hi:[1,1,0] neg_lo:[0,0,1] neg_hi:[0,0,1]
	s_nop 0
	v_mov_b32_e32 v67, v59
	v_pk_add_f32 v[72:73], v[52:53], v[66:67] neg_lo:[0,1] neg_hi:[0,1]
	ds_read2_b64 v[64:67], v92 offset0:110 offset1:229
	v_accvgpr_read_b32 v59, a41
	v_accvgpr_read_b32 v58, a40
	s_waitcnt lgkmcnt(1)
	v_pk_mul_f32 v[58:59], v[58:59], v[62:63]
	v_pk_fma_f32 v[52:53], v[52:53], 2.0, v[72:73] op_sel_hi:[1,0,1] neg_lo:[0,0,1] neg_hi:[0,0,1]
	v_pk_fma_f32 v[68:69], v[148:149], v[62:63], v[58:59] op_sel:[0,0,1] op_sel_hi:[1,1,0]
	v_pk_fma_f32 v[58:59], v[148:149], v[62:63], v[58:59] op_sel:[0,0,1] op_sel_hi:[1,1,0] neg_lo:[0,0,1] neg_hi:[0,0,1]
	s_nop 0
	v_mov_b32_e32 v69, v59
	v_accvgpr_read_b32 v59, a39
	s_waitcnt lgkmcnt(0)
	v_pk_add_f32 v[62:63], v[66:67], v[68:69] neg_lo:[0,1] neg_hi:[0,1]
	v_accvgpr_read_b32 v58, a38
	ds_read2_b64 v[68:71], v93 offset0:56 offset1:175
	v_pk_mul_f32 v[58:59], v[58:59], v[60:61]
	s_waitcnt lgkmcnt(0)
	v_pk_mul_f32 v[76:77], v[96:97], v[70:71]
	v_pk_fma_f32 v[74:75], v[146:147], v[60:61], v[58:59] op_sel:[0,0,1] op_sel_hi:[1,1,0]
	v_pk_fma_f32 v[58:59], v[146:147], v[60:61], v[58:59] op_sel:[0,0,1] op_sel_hi:[1,1,0] neg_lo:[0,0,1] neg_hi:[0,0,1]
	v_pk_fma_f32 v[78:79], v[144:145], v[70:71], v[76:77] op_sel:[0,0,1] op_sel_hi:[1,1,0]
	v_mov_b32_e32 v75, v59
	ds_read2_b64 v[58:61], v85 offset1:119
	v_pk_fma_f32 v[70:71], v[144:145], v[70:71], v[76:77] op_sel:[0,0,1] op_sel_hi:[1,1,0] neg_lo:[0,0,1] neg_hi:[0,0,1]
	v_pk_mul_f32 v[76:77], v[94:95], v[68:69]
	v_mov_b32_e32 v79, v71
	v_pk_add_f32 v[74:75], v[64:65], v[74:75] neg_lo:[0,1] neg_hi:[0,1]
	s_waitcnt lgkmcnt(0)
	v_pk_add_f32 v[70:71], v[60:61], v[78:79] neg_lo:[0,1] neg_hi:[0,1]
	v_pk_fma_f32 v[78:79], v[142:143], v[68:69], v[76:77] op_sel:[0,0,1] op_sel_hi:[1,1,0]
	v_pk_fma_f32 v[68:69], v[142:143], v[68:69], v[76:77] op_sel:[0,0,1] op_sel_hi:[1,1,0] neg_lo:[0,0,1] neg_hi:[0,0,1]
	v_pk_fma_f32 v[60:61], v[60:61], 2.0, v[70:71] op_sel_hi:[1,0,1] neg_lo:[0,0,1] neg_hi:[0,0,1]
	v_mov_b32_e32 v79, v69
	v_pk_add_f32 v[68:69], v[58:59], v[78:79] neg_lo:[0,1] neg_hi:[0,1]
	s_nop 0
	v_pk_fma_f32 v[58:59], v[58:59], 2.0, v[68:69] op_sel_hi:[1,0,1] neg_lo:[0,0,1] neg_hi:[0,0,1]
	s_barrier
	ds_write2_b64 v213, v[58:59], v[68:69] offset1:34
	v_accvgpr_read_b32 v58, a32
	ds_write2_b64 v58, v[60:61], v[70:71] offset1:34
	v_pk_fma_f32 v[58:59], v[64:65], 2.0, v[74:75] op_sel_hi:[1,0,1] neg_lo:[0,0,1] neg_hi:[0,0,1]
	v_accvgpr_read_b32 v60, a33
	ds_write2_b64 v60, v[58:59], v[74:75] offset1:34
	v_pk_fma_f32 v[58:59], v[66:67], 2.0, v[62:63] op_sel_hi:[1,0,1] neg_lo:[0,0,1] neg_hi:[0,0,1]
	v_accvgpr_read_b32 v60, a34
	ds_write2_b64 v60, v[58:59], v[62:63] offset1:34
	v_accvgpr_read_b32 v58, a35
	ds_write2_b64 v58, v[52:53], v[72:73] offset1:34
	v_pk_fma_f32 v[52:53], v[54:55], 2.0, v[6:7] op_sel_hi:[1,0,1] neg_lo:[0,0,1] neg_hi:[0,0,1]
	v_accvgpr_read_b32 v54, a36
	ds_write2_b64 v54, v[52:53], v[6:7] offset1:34
	v_pk_fma_f32 v[6:7], v[56:57], 2.0, v[4:5] op_sel_hi:[1,0,1] neg_lo:[0,0,1] neg_hi:[0,0,1]
	v_accvgpr_read_b32 v52, a37
	ds_write2_b64 v52, v[6:7], v[4:5] offset1:34
	v_accvgpr_read_b32 v4, a50
	ds_write2_b64 v4, v[80:81], v[82:83] offset1:34
	v_add_u32_e32 v4, 0x800, v85
	s_waitcnt lgkmcnt(0)
	s_barrier
	ds_read2_b64 v[56:59], v4 offset0:16 offset1:135
	v_add_u32_e32 v4, 0x1000, v85
	ds_read2_b64 v[60:63], v4 offset0:32 offset1:151
	v_add_u32_e32 v4, 0x1800, v85
	;; [unrolled: 2-line block ×4, first 2 shown]
	ds_read2_b64 v[52:55], v85 offset1:119
	ds_read2_b64 v[68:71], v4 offset0:80 offset1:199
	ds_read2_b64 v[64:67], v87 offset0:96 offset1:215
	s_and_saveexec_b64 s[0:1], s[4:5]
	s_xor_b64 s[0:1], exec, s[0:1]
; %bb.18:
	v_accvgpr_read_b32 v4, a60
	v_accvgpr_read_b32 v5, a61
	v_mov_b32_e32 v118, v82
	v_mov_b32_e32 v119, v5
	;; [unrolled: 1-line block ×4, first 2 shown]
; %bb.19:
	s_andn2_saveexec_b64 s[0:1], s[0:1]
	s_cbranch_execz .LBB0_21
; %bb.20:
	ds_read_b64 v[4:5], v85 offset:8432
	ds_read_b64 v[6:7], v85 offset:14960
	;; [unrolled: 1-line block ×7, first 2 shown]
	s_waitcnt lgkmcnt(5)
	v_mov_b32_e32 v250, v6
	v_mov_b32_e32 v251, v5
	;; [unrolled: 1-line block ×4, first 2 shown]
	s_waitcnt lgkmcnt(3)
	v_mov_b32_e32 v118, v82
	s_waitcnt lgkmcnt(1)
	v_mov_b32_e32 v119, v89
	v_mov_b32_e32 v120, v83
	;; [unrolled: 1-line block ×3, first 2 shown]
.LBB0_21:
	s_or_b64 exec, exec, s[0:1]
	s_waitcnt lgkmcnt(4)
	v_pk_mul_f32 v[122:123], v[28:29], v[76:77] op_sel:[0,1] op_sel_hi:[1,0]
	v_mov_b32_e32 v82, v110
	v_mov_b32_e32 v83, v110
	;; [unrolled: 1-line block ×3, first 2 shown]
	v_pk_mul_f32 v[4:5], v[24:25], v[56:57] op_sel_hi:[1,0]
	v_mov_b32_e32 v6, v57
	v_mov_b32_e32 v122, v123
	s_waitcnt lgkmcnt(3)
	v_pk_mul_f32 v[124:125], v[30:31], v[72:73] op_sel:[0,1] op_sel_hi:[1,0]
	v_mov_b64_e32 v[150:151], v[110:111]
	v_pk_mul_f32 v[88:89], v[26:27], v[60:61] op_sel_hi:[1,0]
	v_mov_b32_e32 v106, v61
	v_pk_mul_f32 v[108:109], v[28:29], v[76:77]
	v_mov_b32_e32 v110, v29
	v_pk_fma_f32 v[28:29], v[28:29], v[76:77], v[122:123] op_sel:[0,1,0] op_sel_hi:[1,0,1] neg_lo:[0,0,1] neg_hi:[0,0,1]
	v_mov_b32_e32 v122, v31
	v_mov_b32_e32 v124, v125
	v_pk_fma_f32 v[6:7], v[24:25], v[6:7], v[4:5] op_sel:[0,0,1] op_sel_hi:[1,1,0] neg_lo:[0,0,1] neg_hi:[0,0,1]
	v_pk_fma_f32 v[4:5], v[24:25], v[56:57], v[4:5] op_sel:[0,1,1] op_sel_hi:[1,1,0]
	v_mov_b32_e32 v94, v128
	v_mov_b32_e32 v95, v128
	;; [unrolled: 1-line block ×3, first 2 shown]
	v_pk_mul_f32 v[110:111], v[110:111], v[76:77] op_sel:[0,1] op_sel_hi:[1,0]
	v_pk_mul_f32 v[76:77], v[30:31], v[72:73]
	v_pk_mul_f32 v[122:123], v[122:123], v[72:73] op_sel:[0,1] op_sel_hi:[1,0]
	v_pk_fma_f32 v[30:31], v[30:31], v[72:73], v[124:125] op_sel:[0,1,0] op_sel_hi:[1,0,1] neg_lo:[0,0,1] neg_hi:[0,0,1]
	s_waitcnt lgkmcnt(1)
	v_pk_mul_f32 v[72:73], v[20:21], v[68:69] op_sel_hi:[1,0]
	v_mov_b32_e32 v124, v69
	v_mov_b32_e32 v7, v5
	v_pk_fma_f32 v[4:5], v[26:27], v[106:107], v[88:89] op_sel:[0,0,1] op_sel_hi:[1,1,0] neg_lo:[0,0,1] neg_hi:[0,0,1]
	v_pk_fma_f32 v[24:25], v[26:27], v[60:61], v[88:89] op_sel:[0,1,1] op_sel_hi:[1,1,0]
	v_mov_b64_e32 v[152:153], v[128:129]
	s_waitcnt lgkmcnt(0)
	v_pk_mul_f32 v[126:127], v[22:23], v[64:65] op_sel_hi:[1,0]
	v_mov_b32_e32 v128, v65
	v_mov_b32_e32 v5, v25
	v_pk_fma_f32 v[24:25], v[20:21], v[124:125], v[72:73] op_sel:[0,0,1] op_sel_hi:[1,1,0] neg_lo:[0,0,1] neg_hi:[0,0,1]
	v_pk_fma_f32 v[20:21], v[20:21], v[68:69], v[72:73] op_sel:[0,1,1] op_sel_hi:[1,1,0]
	v_mov_b32_e32 v77, v6
	v_mov_b32_e32 v25, v21
	v_pk_fma_f32 v[20:21], v[22:23], v[128:129], v[126:127] op_sel:[0,0,1] op_sel_hi:[1,1,0] neg_lo:[0,0,1] neg_hi:[0,0,1]
	v_pk_fma_f32 v[22:23], v[22:23], v[64:65], v[126:127] op_sel:[0,1,1] op_sel_hi:[1,1,0]
	v_mov_b32_e32 v123, v20
	v_mov_b32_e32 v21, v23
	;; [unrolled: 1-line block ×4, first 2 shown]
	v_pk_add_f32 v[22:23], v[6:7], v[20:21]
	v_pk_add_f32 v[26:27], v[6:7], v[20:21] neg_lo:[0,1] neg_hi:[0,1]
	v_pk_add_f32 v[56:57], v[4:5], v[24:25]
	v_pk_add_f32 v[60:61], v[4:5], v[24:25] neg_lo:[0,1] neg_hi:[0,1]
	v_pk_add_f32 v[6:7], v[76:77], v[122:123]
	v_pk_add_f32 v[4:5], v[108:109], v[110:111]
	v_mov_b32_e32 v31, v6
	v_mov_b32_e32 v29, v4
	v_pk_add_f32 v[20:21], v[30:31], v[28:29] neg_lo:[0,1] neg_hi:[0,1]
	v_mov_b32_e32 v72, v57
	v_mov_b32_e32 v73, v28
	;; [unrolled: 1-line block ×4, first 2 shown]
	v_pk_add_f32 v[28:29], v[72:73], v[28:29]
	v_pk_add_f32 v[30:31], v[4:5], v[6:7]
	v_mov_b32_e32 v24, v20
	v_mov_b32_e32 v25, v27
	;; [unrolled: 1-line block ×4, first 2 shown]
	s_mov_b32 s4, 0x3f08b237
	v_mov_b32_e32 v6, v30
	v_mov_b32_e32 v73, v29
	s_mov_b32 s22, 0x3d64c772
	v_pk_add_f32 v[24:25], v[24:25], v[64:65] neg_lo:[0,1] neg_hi:[0,1]
	s_mov_b32 s5, 0xbeae86e6
	v_mov_b32_e32 v64, v26
	v_mov_b32_e32 v68, v20
	;; [unrolled: 1-line block ×3, first 2 shown]
	v_pk_add_f32 v[72:73], v[6:7], v[72:73] neg_lo:[0,1] neg_hi:[0,1]
	v_mov_b32_e32 v76, v23
	v_mov_b32_e32 v77, v29
	;; [unrolled: 1-line block ×3, first 2 shown]
	v_pk_add_f32 v[28:29], v[28:29], v[30:31]
	s_mov_b32 s23, 0x3f4a47b2
	v_pk_mul_f32 v[24:25], v[24:25], s[4:5]
	v_pk_add_f32 v[64:65], v[64:65], v[68:69] neg_lo:[0,1] neg_hi:[0,1]
	s_mov_b32 s14, s5
	s_mov_b32 s15, s4
	v_pk_add_f32 v[20:21], v[20:21], v[60:61]
	v_pk_add_f32 v[76:77], v[76:77], v[4:5] neg_lo:[0,1] neg_hi:[0,1]
	v_pk_add_f32 v[30:31], v[52:53], v[28:29]
	s_mov_b32 s26, 0x3f955555
	v_pk_mul_f32 v[52:53], v[72:73], s[22:23]
	s_mov_b32 s24, s23
	s_mov_b32 s25, s22
	v_pk_mul_f32 v[68:69], v[64:65], s[14:15]
	v_pk_add_f32 v[20:21], v[20:21], v[26:27]
	s_mov_b32 s0, 0xbee1c552
	v_pk_mul_f32 v[72:73], v[76:77], s[24:25]
	v_pk_fma_f32 v[28:29], v[28:29], s[26:27], v[30:31] op_sel_hi:[1,0,1] neg_lo:[1,0,0] neg_hi:[1,0,0]
	v_pk_fma_f32 v[76:77], v[76:77], s[24:25], v[52:53]
	v_pk_fma_f32 v[64:65], v[64:65], s[14:15], v[24:25]
	v_mov_b32_e32 v4, v57
	v_mov_b32_e32 v6, v23
	v_pk_add_f32 v[76:77], v[76:77], v[28:29]
	v_pk_fma_f32 v[64:65], v[20:21], s[0:1], v[64:65] op_sel_hi:[1,0,1]
	v_pk_add_f32 v[26:27], v[60:61], v[26:27] neg_lo:[0,1] neg_hi:[0,1]
	s_mov_b32 s18, 0xbf5ff5aa
	v_pk_add_f32 v[4:5], v[4:5], v[6:7] neg_lo:[0,1] neg_hi:[0,1]
	s_mov_b32 s20, 0x3f3bfb3b
	v_mov_b32_e32 v6, v72
	v_mov_b32_e32 v7, v53
	;; [unrolled: 1-line block ×6, first 2 shown]
	v_pk_add_f32 v[88:89], v[76:77], v[64:65]
	v_pk_add_f32 v[64:65], v[76:77], v[64:65] neg_lo:[0,1] neg_hi:[0,1]
	v_pk_fma_f32 v[6:7], v[4:5], s[20:21], v[6:7] op_sel_hi:[1,0,1] neg_lo:[1,0,1] neg_hi:[1,0,1]
	v_pk_fma_f32 v[22:23], v[26:27], s[18:19], v[22:23] op_sel_hi:[1,0,1] neg_lo:[1,0,1] neg_hi:[1,0,1]
	;; [unrolled: 1-line block ×4, first 2 shown]
	v_mov_b32_e32 v76, v88
	v_mov_b32_e32 v77, v65
	v_pk_add_f32 v[6:7], v[6:7], v[28:29]
	v_pk_fma_f32 v[22:23], v[20:21], s[0:1], v[22:23] op_sel_hi:[1,0,1]
	v_pk_add_f32 v[4:5], v[4:5], v[28:29]
	v_pk_fma_f32 v[20:21], v[20:21], s[0:1], v[24:25] op_sel_hi:[1,0,1]
	s_barrier
	ds_write2_b64 v137, v[30:31], v[76:77] offset1:68
	v_pk_add_f32 v[30:31], v[6:7], v[22:23]
	v_pk_add_f32 v[6:7], v[6:7], v[22:23] neg_lo:[0,1] neg_hi:[0,1]
	v_pk_add_f32 v[24:25], v[4:5], v[20:21] neg_lo:[0,1] neg_hi:[0,1]
	v_pk_add_f32 v[4:5], v[4:5], v[20:21]
	v_mov_b32_e32 v100, v130
	v_mov_b32_e32 v101, v130
	;; [unrolled: 1-line block ×3, first 2 shown]
	v_pk_mul_f32 v[142:143], v[32:33], v[78:79] op_sel:[0,1] op_sel_hi:[1,0]
	v_mov_b32_e32 v22, v30
	v_mov_b32_e32 v23, v7
	;; [unrolled: 1-line block ×7, first 2 shown]
	v_mov_b64_e32 v[154:155], v[130:131]
	v_pk_mul_f32 v[130:131], v[16:17], v[58:59] op_sel_hi:[1,0]
	v_mov_b32_e32 v132, v59
	v_mov_b32_e32 v142, v143
	v_pk_mul_f32 v[144:145], v[34:35], v[74:75] op_sel:[0,1] op_sel_hi:[1,0]
	ds_write2_b64 v137, v[22:23], v[20:21] offset0:136 offset1:204
	v_mov_b32_e32 v5, v25
	v_mov_b32_e32 v7, v31
	v_add_u32_e32 v20, 0x800, v137
	v_mov_b64_e32 v[156:157], v[134:135]
	v_pk_mul_f32 v[134:135], v[18:19], v[62:63] op_sel_hi:[1,0]
	v_mov_b32_e32 v136, v63
	v_pk_mul_f32 v[138:139], v[32:33], v[78:79]
	v_mov_b32_e32 v140, v33
	v_pk_fma_f32 v[32:33], v[32:33], v[78:79], v[142:143] op_sel:[0,1,0] op_sel_hi:[1,0,1] neg_lo:[0,0,1] neg_hi:[0,0,1]
	v_mov_b32_e32 v142, v35
	v_mov_b32_e32 v144, v145
	ds_write2_b64 v20, v[4:5], v[6:7] offset0:16 offset1:84
	v_pk_fma_f32 v[4:5], v[16:17], v[132:133], v[130:131] op_sel:[0,0,1] op_sel_hi:[1,1,0] neg_lo:[0,0,1] neg_hi:[0,0,1]
	v_pk_fma_f32 v[6:7], v[16:17], v[58:59], v[130:131] op_sel:[0,1,1] op_sel_hi:[1,1,0]
	v_pk_mul_f32 v[140:141], v[140:141], v[78:79] op_sel:[0,1] op_sel_hi:[1,0]
	v_pk_mul_f32 v[78:79], v[34:35], v[74:75]
	v_pk_mul_f32 v[142:143], v[142:143], v[74:75] op_sel:[0,1] op_sel_hi:[1,0]
	v_pk_fma_f32 v[34:35], v[34:35], v[74:75], v[144:145] op_sel:[0,1,0] op_sel_hi:[1,0,1] neg_lo:[0,0,1] neg_hi:[0,0,1]
	v_pk_mul_f32 v[74:75], v[12:13], v[70:71] op_sel_hi:[1,0]
	v_mov_b32_e32 v144, v71
	v_mov_b32_e32 v5, v7
	v_pk_fma_f32 v[6:7], v[18:19], v[136:137], v[134:135] op_sel:[0,0,1] op_sel_hi:[1,1,0] neg_lo:[0,0,1] neg_hi:[0,0,1]
	v_pk_fma_f32 v[16:17], v[18:19], v[62:63], v[134:135] op_sel:[0,1,1] op_sel_hi:[1,1,0]
	v_pk_mul_f32 v[146:147], v[14:15], v[66:67] op_sel_hi:[1,0]
	v_mov_b32_e32 v148, v67
	v_mov_b32_e32 v7, v17
	v_pk_fma_f32 v[16:17], v[12:13], v[144:145], v[74:75] op_sel:[0,0,1] op_sel_hi:[1,1,0] neg_lo:[0,0,1] neg_hi:[0,0,1]
	v_pk_fma_f32 v[12:13], v[12:13], v[70:71], v[74:75] op_sel:[0,1,1] op_sel_hi:[1,1,0]
	v_mov_b32_e32 v79, v4
	v_mov_b32_e32 v17, v13
	v_pk_fma_f32 v[12:13], v[14:15], v[148:149], v[146:147] op_sel:[0,0,1] op_sel_hi:[1,1,0] neg_lo:[0,0,1] neg_hi:[0,0,1]
	v_pk_fma_f32 v[14:15], v[14:15], v[66:67], v[146:147] op_sel:[0,1,1] op_sel_hi:[1,1,0]
	v_mov_b32_e32 v143, v12
	v_mov_b32_e32 v13, v15
	;; [unrolled: 1-line block ×4, first 2 shown]
	v_pk_add_f32 v[14:15], v[4:5], v[12:13]
	v_pk_add_f32 v[18:19], v[4:5], v[12:13] neg_lo:[0,1] neg_hi:[0,1]
	v_pk_add_f32 v[20:21], v[6:7], v[16:17]
	v_pk_add_f32 v[22:23], v[6:7], v[16:17] neg_lo:[0,1] neg_hi:[0,1]
	v_pk_add_f32 v[4:5], v[78:79], v[142:143]
	v_pk_add_f32 v[6:7], v[138:139], v[140:141]
	v_mov_b32_e32 v35, v4
	v_mov_b32_e32 v33, v6
	v_pk_add_f32 v[12:13], v[34:35], v[32:33] neg_lo:[0,1] neg_hi:[0,1]
	v_mov_b32_e32 v28, v21
	v_mov_b32_e32 v29, v32
	;; [unrolled: 1-line block ×8, first 2 shown]
	v_pk_add_f32 v[28:29], v[28:29], v[30:31]
	v_pk_add_f32 v[30:31], v[6:7], v[4:5]
	v_pk_add_f32 v[16:17], v[16:17], v[24:25] neg_lo:[0,1] neg_hi:[0,1]
	v_mov_b32_e32 v24, v18
	v_mov_b32_e32 v26, v12
	;; [unrolled: 1-line block ×9, first 2 shown]
	v_pk_add_f32 v[24:25], v[24:25], v[26:27] neg_lo:[0,1] neg_hi:[0,1]
	v_pk_add_f32 v[32:33], v[4:5], v[32:33] neg_lo:[0,1] neg_hi:[0,1]
	;; [unrolled: 1-line block ×3, first 2 shown]
	v_pk_mul_f32 v[16:17], v[16:17], s[4:5]
	v_pk_mul_f32 v[26:27], v[24:25], s[14:15]
	v_pk_add_f32 v[12:13], v[12:13], v[22:23]
	v_pk_add_f32 v[28:29], v[28:29], v[30:31]
	v_pk_mul_f32 v[32:33], v[32:33], s[22:23]
	v_pk_mul_f32 v[52:53], v[34:35], s[24:25]
	v_mov_b32_e32 v6, v21
	v_mov_b32_e32 v4, v15
	v_pk_add_f32 v[12:13], v[12:13], v[18:19]
	v_pk_add_f32 v[30:31], v[54:55], v[28:29]
	v_pk_fma_f32 v[34:35], v[34:35], s[24:25], v[32:33]
	v_pk_fma_f32 v[24:25], v[24:25], s[14:15], v[16:17]
	v_pk_add_f32 v[18:19], v[22:23], v[18:19] neg_lo:[0,1] neg_hi:[0,1]
	v_pk_add_f32 v[4:5], v[6:7], v[4:5] neg_lo:[0,1] neg_hi:[0,1]
	v_mov_b32_e32 v6, v52
	v_mov_b32_e32 v7, v33
	;; [unrolled: 1-line block ×6, first 2 shown]
	v_pk_fma_f32 v[28:29], v[28:29], s[26:27], v[30:31] op_sel_hi:[1,0,1] neg_lo:[1,0,0] neg_hi:[1,0,0]
	v_pk_fma_f32 v[6:7], v[4:5], s[20:21], v[6:7] op_sel_hi:[1,0,1] neg_lo:[1,0,1] neg_hi:[1,0,1]
	v_pk_fma_f32 v[14:15], v[18:19], s[18:19], v[14:15] op_sel_hi:[1,0,1] neg_lo:[1,0,1] neg_hi:[1,0,1]
	v_pk_fma_f32 v[4:5], v[4:5], s[20:21], v[32:33] op_sel_hi:[1,0,1] neg_lo:[0,0,1] neg_hi:[0,0,1]
	v_pk_fma_f32 v[16:17], v[18:19], s[18:19], v[16:17] op_sel_hi:[1,0,1] neg_lo:[0,0,1] neg_hi:[0,0,1]
	v_pk_add_f32 v[34:35], v[34:35], v[28:29]
	v_pk_fma_f32 v[24:25], v[12:13], s[0:1], v[24:25] op_sel_hi:[1,0,1]
	v_pk_add_f32 v[6:7], v[6:7], v[28:29]
	v_pk_fma_f32 v[14:15], v[12:13], s[0:1], v[14:15] op_sel_hi:[1,0,1]
	;; [unrolled: 2-line block ×3, first 2 shown]
	v_pk_add_f32 v[54:55], v[34:35], v[24:25]
	v_pk_add_f32 v[20:21], v[6:7], v[14:15]
	v_pk_add_f32 v[6:7], v[6:7], v[14:15] neg_lo:[0,1] neg_hi:[0,1]
	v_pk_add_f32 v[16:17], v[4:5], v[12:13] neg_lo:[0,1] neg_hi:[0,1]
	v_pk_add_f32 v[4:5], v[4:5], v[12:13]
	v_mov_b32_e32 v65, v89
	v_pk_add_f32 v[24:25], v[34:35], v[24:25] neg_lo:[0,1] neg_hi:[0,1]
	v_mov_b32_e32 v34, v54
	v_accvgpr_read_b32 v54, a51
	v_mov_b32_e32 v14, v20
	v_mov_b32_e32 v15, v7
	;; [unrolled: 1-line block ×28, first 2 shown]
	ds_write_b64 v137, v[64:65] offset:3264
	v_mov_b32_e32 v35, v25
	ds_write2_b64 v54, v[14:15], v[12:13] offset0:136 offset1:204
	v_mov_b32_e32 v5, v17
	v_mov_b32_e32 v7, v21
	v_add_u32_e32 v12, 0x800, v54
	v_mov_b32_e32 v25, v55
	ds_write2_b64 v54, v[30:31], v[34:35] offset1:68
	ds_write2_b64 v12, v[4:5], v[6:7] offset0:16 offset1:84
	ds_write_b64 v54, v[24:25] offset:3264
	s_and_saveexec_b64 s[26:27], s[2:3]
	s_cbranch_execz .LBB0_23
; %bb.22:
	v_mov_b32_e32 v22, v3
	v_mov_b32_e32 v23, v249
	;; [unrolled: 1-line block ×8, first 2 shown]
	v_pk_mul_f32 v[22:23], v[22:23], v[24:25]
	v_mov_b32_e32 v25, v8
	v_pk_mul_f32 v[30:31], v[30:31], v[32:33]
	v_pk_mul_f32 v[32:33], v[248:249], v[244:245]
	;; [unrolled: 1-line block ×3, first 2 shown]
	v_mov_b32_e32 v35, v32
	v_mov_b32_e32 v34, v8
	;; [unrolled: 1-line block ×3, first 2 shown]
	v_pk_add_f32 v[8:9], v[34:35], v[32:33]
	v_mov_b32_e32 v32, v11
	v_mov_b32_e32 v6, v247
	;; [unrolled: 1-line block ×5, first 2 shown]
	v_pk_mul_f32 v[32:33], v[32:33], v[250:251]
	v_mov_b32_e32 v4, v246
	v_mov_b32_e32 v5, v2
	v_pk_mul_f32 v[6:7], v[6:7], v[120:121]
	v_mov_b32_e32 v12, v10
	v_mov_b32_e32 v13, v0
	v_pk_mul_f32 v[14:15], v[14:15], v[254:255]
	v_mov_b32_e32 v16, v2
	v_mov_b32_e32 v17, v248
	v_mov_b32_e32 v18, v121
	v_mov_b32_e32 v20, v121
	;; [unrolled: 1-line block ×7, first 2 shown]
	v_pk_fma_f32 v[10:11], v[10:11], v[254:255], v[32:33] neg_lo:[0,0,1] neg_hi:[0,0,1]
	v_mov_b32_e32 v32, v247
	v_pk_mul_f32 v[32:33], v[32:33], v[118:119]
	v_pk_fma_f32 v[54:55], v[12:13], v[250:251], v[14:15]
	v_pk_fma_f32 v[12:13], v[12:13], v[250:251], v[14:15] neg_lo:[0,0,1] neg_hi:[0,0,1]
	v_pk_fma_f32 v[14:15], v[4:5], v[118:119], v[6:7]
	v_pk_fma_f32 v[4:5], v[4:5], v[118:119], v[6:7] neg_lo:[0,0,1] neg_hi:[0,0,1]
	;; [unrolled: 2-line block ×4, first 2 shown]
	v_pk_fma_f32 v[32:33], v[246:247], v[120:121], v[32:33] neg_lo:[0,0,1] neg_hi:[0,0,1]
	v_mov_b32_e32 v52, v9
	v_mov_b32_e32 v55, v13
	;; [unrolled: 1-line block ×5, first 2 shown]
	v_pk_add_f32 v[34:35], v[10:11], v[32:33]
	v_pk_add_f32 v[52:53], v[8:9], v[52:53]
	;; [unrolled: 1-line block ×4, first 2 shown]
	v_mov_b32_e32 v4, v5
	v_mov_b32_e32 v5, v2
	;; [unrolled: 1-line block ×9, first 2 shown]
	v_pk_add_f32 v[0:1], v[4:5], v[2:3] neg_lo:[0,1] neg_hi:[0,1]
	v_mov_b32_e32 v2, v17
	v_mov_b32_e32 v3, v9
	;; [unrolled: 1-line block ×4, first 2 shown]
	v_pk_add_f32 v[26:27], v[26:27], v[52:53] neg_lo:[0,1] neg_hi:[0,1]
	v_mov_b32_e32 v53, v21
	v_mov_b32_e32 v28, v18
	;; [unrolled: 1-line block ×3, first 2 shown]
	v_pk_add_f32 v[10:11], v[32:33], v[10:11] neg_lo:[0,1] neg_hi:[0,1]
	v_pk_add_f32 v[2:3], v[2:3], v[4:5] neg_lo:[0,1] neg_hi:[0,1]
	;; [unrolled: 1-line block ×3, first 2 shown]
	v_pk_add_f32 v[30:31], v[52:53], v[28:29]
	v_mov_b32_e32 v21, v19
	v_mov_b32_e32 v8, v0
	;; [unrolled: 1-line block ×5, first 2 shown]
	v_pk_add_f32 v[18:19], v[20:21], v[30:31]
	v_mov_b32_e32 v4, v10
	v_mov_b32_e32 v5, v1
	;; [unrolled: 1-line block ×4, first 2 shown]
	v_pk_add_f32 v[8:9], v[8:9], v[12:13] neg_lo:[0,1] neg_hi:[0,1]
	v_pk_mul_f32 v[26:27], v[26:27], s[22:23]
	v_pk_add_f32 v[20:21], v[80:81], v[18:19]
	s_mov_b32 s2, 0xbf955555
	v_pk_add_f32 v[4:5], v[4:5], v[6:7] neg_lo:[0,1] neg_hi:[0,1]
	v_pk_mul_f32 v[8:9], v[8:9], s[4:5]
	v_pk_add_f32 v[0:1], v[0:1], v[2:3]
	v_pk_mul_f32 v[24:25], v[22:23], s[24:25]
	v_pk_fma_f32 v[22:23], v[22:23], s[24:25], v[26:27]
	v_pk_fma_f32 v[18:19], v[18:19], s[2:3], v[20:21] op_sel_hi:[1,0,1]
	v_pk_mul_f32 v[6:7], v[4:5], s[14:15]
	v_pk_fma_f32 v[4:5], v[4:5], s[14:15], v[8:9]
	v_pk_add_f32 v[0:1], v[0:1], v[10:11]
	v_pk_add_f32 v[22:23], v[22:23], v[18:19]
	v_pk_fma_f32 v[4:5], v[0:1], s[0:1], v[4:5] op_sel_hi:[1,0,1]
	v_pk_add_f32 v[2:3], v[2:3], v[10:11] neg_lo:[0,1] neg_hi:[0,1]
	v_pk_add_f32 v[12:13], v[22:23], v[4:5] neg_lo:[0,1] neg_hi:[0,1]
	v_pk_add_f32 v[4:5], v[22:23], v[4:5]
	v_mov_b32_e32 v15, v13
	v_mov_b32_e32 v14, v4
	v_add_u32_e32 v4, 0x2800, v133
	v_mov_b32_e32 v10, v6
	v_mov_b32_e32 v11, v9
	;; [unrolled: 1-line block ×3, first 2 shown]
	ds_write2_b64 v4, v[20:21], v[14:15] offset0:148 offset1:216
	v_mov_b32_e32 v14, v24
	v_mov_b32_e32 v15, v27
	v_pk_add_f32 v[16:17], v[52:53], v[28:29] neg_lo:[0,1] neg_hi:[0,1]
	v_pk_fma_f32 v[10:11], v[2:3], s[18:19], v[10:11] op_sel_hi:[1,0,1] neg_lo:[1,0,1] neg_hi:[1,0,1]
	v_pk_fma_f32 v[2:3], v[2:3], s[18:19], v[8:9] op_sel_hi:[1,0,1] neg_lo:[0,0,1] neg_hi:[0,0,1]
	v_mov_b32_e32 v27, v25
	v_pk_fma_f32 v[14:15], v[16:17], s[20:21], v[14:15] op_sel_hi:[1,0,1] neg_lo:[1,0,1] neg_hi:[1,0,1]
	v_pk_fma_f32 v[10:11], v[0:1], s[0:1], v[10:11] op_sel_hi:[1,0,1]
	v_pk_fma_f32 v[0:1], v[0:1], s[0:1], v[2:3] op_sel_hi:[1,0,1]
	v_pk_fma_f32 v[2:3], v[16:17], s[20:21], v[26:27] op_sel_hi:[1,0,1] neg_lo:[0,0,1] neg_hi:[0,0,1]
	v_pk_add_f32 v[14:15], v[14:15], v[18:19]
	v_pk_add_f32 v[2:3], v[2:3], v[18:19]
	v_pk_add_f32 v[20:21], v[14:15], v[10:11] neg_lo:[0,1] neg_hi:[0,1]
	v_pk_add_f32 v[10:11], v[14:15], v[10:11]
	v_pk_add_f32 v[6:7], v[2:3], v[0:1]
	v_pk_add_f32 v[0:1], v[2:3], v[0:1] neg_lo:[0,1] neg_hi:[0,1]
	v_mov_b32_e32 v14, v10
	v_mov_b32_e32 v15, v21
	;; [unrolled: 1-line block ×4, first 2 shown]
	v_add_u32_e32 v0, 0x3000, v133
	v_mov_b32_e32 v7, v1
	v_mov_b32_e32 v21, v11
	;; [unrolled: 1-line block ×3, first 2 shown]
	ds_write2_b64 v0, v[14:15], v[2:3] offset0:28 offset1:96
	ds_write2_b64 v0, v[6:7], v[20:21] offset0:164 offset1:232
	ds_write_b64 v133, v[12:13] offset:14688
.LBB0_23:
	s_or_b64 exec, exec, s[26:27]
	v_add_u32_e32 v52, 0xc00, v85
	s_waitcnt lgkmcnt(0)
	s_barrier
	ds_read2_b64 v[4:7], v52 offset0:92 offset1:211
	v_add_u32_e32 v53, 0x1c00, v85
	ds_read2_b64 v[8:11], v53 offset0:56 offset1:175
	v_add_u32_e32 v54, 0x2c00, v85
	ds_read2_b64 v[12:15], v54 offset0:20 offset1:139
	s_waitcnt lgkmcnt(2)
	v_pk_mul_f32 v[16:17], v[48:49], v[4:5]
	ds_read2_b64 v[0:3], v85 offset1:119
	v_pk_fma_f32 v[18:19], v[116:117], v[4:5], v[16:17] op_sel:[0,0,1] op_sel_hi:[1,1,0]
	v_pk_fma_f32 v[4:5], v[116:117], v[4:5], v[16:17] op_sel:[0,0,1] op_sel_hi:[1,1,0] neg_lo:[0,0,1] neg_hi:[0,0,1]
	s_movk_i32 s2, 0x3000
	v_mov_b32_e32 v19, v5
	s_waitcnt lgkmcnt(2)
	v_pk_mul_f32 v[4:5], v[50:51], v[8:9]
	s_nop 0
	v_pk_fma_f32 v[16:17], v[114:115], v[8:9], v[4:5] op_sel:[0,0,1] op_sel_hi:[1,1,0]
	v_pk_fma_f32 v[4:5], v[114:115], v[8:9], v[4:5] op_sel:[0,0,1] op_sel_hi:[1,1,0] neg_lo:[0,0,1] neg_hi:[0,0,1]
	s_nop 0
	v_mov_b32_e32 v17, v5
	s_waitcnt lgkmcnt(1)
	v_pk_mul_f32 v[4:5], v[156:157], v[12:13]
	s_waitcnt lgkmcnt(0)
	v_pk_add_f32 v[16:17], v[0:1], v[16:17] neg_lo:[0,1] neg_hi:[0,1]
	v_pk_fma_f32 v[8:9], v[112:113], v[12:13], v[4:5] op_sel:[0,0,1] op_sel_hi:[1,1,0]
	v_pk_fma_f32 v[4:5], v[112:113], v[12:13], v[4:5] op_sel:[0,0,1] op_sel_hi:[1,1,0] neg_lo:[0,0,1] neg_hi:[0,0,1]
	v_pk_fma_f32 v[0:1], v[0:1], 2.0, v[16:17] op_sel_hi:[1,0,1] neg_lo:[0,0,1] neg_hi:[0,0,1]
	v_mov_b32_e32 v9, v5
	v_pk_add_f32 v[20:21], v[18:19], v[8:9] neg_lo:[0,1] neg_hi:[0,1]
	s_nop 0
	v_pk_fma_f32 v[4:5], v[18:19], 2.0, v[20:21] op_sel_hi:[1,0,1] neg_lo:[0,0,1] neg_hi:[0,0,1]
	s_nop 0
	v_pk_add_f32 v[18:19], v[0:1], v[4:5] neg_lo:[0,1] neg_hi:[0,1]
	s_nop 0
	v_pk_fma_f32 v[22:23], v[0:1], 2.0, v[18:19] op_sel_hi:[1,0,1] neg_lo:[0,0,1] neg_hi:[0,0,1]
	v_pk_mul_f32 v[0:1], v[44:45], v[6:7]
	v_add_u32_e32 v45, 0x1400, v85
	v_pk_fma_f32 v[4:5], v[104:105], v[6:7], v[0:1] op_sel:[0,0,1] op_sel_hi:[1,1,0]
	v_pk_fma_f32 v[0:1], v[104:105], v[6:7], v[0:1] op_sel:[0,0,1] op_sel_hi:[1,1,0] neg_lo:[0,0,1] neg_hi:[0,0,1]
	v_add_u32_e32 v44, 0x400, v85
	v_mov_b32_e32 v5, v1
	v_pk_mul_f32 v[0:1], v[46:47], v[10:11]
	v_add_u32_e32 v46, 0x2400, v85
	v_pk_fma_f32 v[6:7], v[102:103], v[10:11], v[0:1] op_sel:[0,0,1] op_sel_hi:[1,1,0]
	v_pk_fma_f32 v[0:1], v[102:103], v[10:11], v[0:1] op_sel:[0,0,1] op_sel_hi:[1,1,0] neg_lo:[0,0,1] neg_hi:[0,0,1]
	v_add_u32_e32 v47, 0x3000, v85
	v_mov_b32_e32 v7, v1
	v_pk_mul_f32 v[0:1], v[154:155], v[14:15]
	v_pk_add_f32 v[24:25], v[2:3], v[6:7] neg_lo:[0,1] neg_hi:[0,1]
	v_pk_fma_f32 v[8:9], v[100:101], v[14:15], v[0:1] op_sel:[0,0,1] op_sel_hi:[1,1,0]
	v_pk_fma_f32 v[0:1], v[100:101], v[14:15], v[0:1] op_sel:[0,0,1] op_sel_hi:[1,1,0] neg_lo:[0,0,1] neg_hi:[0,0,1]
	ds_read2_b64 v[12:15], v47 offset0:130 offset1:249
	v_mov_b32_e32 v9, v1
	v_pk_add_f32 v[26:27], v[4:5], v[8:9] neg_lo:[0,1] neg_hi:[0,1]
	v_pk_fma_f32 v[0:1], v[2:3], 2.0, v[24:25] op_sel_hi:[1,0,1] neg_lo:[0,0,1] neg_hi:[0,0,1]
	v_pk_fma_f32 v[2:3], v[4:5], 2.0, v[26:27] op_sel_hi:[1,0,1] neg_lo:[0,0,1] neg_hi:[0,0,1]
	ds_read2_b64 v[4:7], v45 offset0:74 offset1:193
	ds_read2_b64 v[8:11], v46 offset0:38 offset1:157
	v_pk_add_f32 v[28:29], v[0:1], v[2:3] neg_lo:[0,1] neg_hi:[0,1]
	s_waitcnt lgkmcnt(1)
	v_pk_mul_f32 v[32:33], v[40:41], v[4:5]
	s_nop 0
	v_pk_fma_f32 v[34:35], v[98:99], v[4:5], v[32:33] op_sel:[0,0,1] op_sel_hi:[1,1,0]
	v_pk_fma_f32 v[4:5], v[98:99], v[4:5], v[32:33] op_sel:[0,0,1] op_sel_hi:[1,1,0] neg_lo:[0,0,1] neg_hi:[0,0,1]
	v_pk_fma_f32 v[30:31], v[0:1], 2.0, v[28:29] op_sel_hi:[1,0,1] neg_lo:[0,0,1] neg_hi:[0,0,1]
	ds_read2_b64 v[0:3], v44 offset0:110 offset1:229
	v_mov_b32_e32 v35, v5
	s_waitcnt lgkmcnt(1)
	v_pk_mul_f32 v[4:5], v[42:43], v[8:9]
	ds_write2_b64 v53, v[18:19], v[28:29] offset0:56 offset1:175
	ds_write2_b64 v85, v[22:23], v[30:31] offset1:119
	v_pk_fma_f32 v[32:33], v[96:97], v[8:9], v[4:5] op_sel:[0,0,1] op_sel_hi:[1,1,0]
	v_pk_fma_f32 v[4:5], v[96:97], v[8:9], v[4:5] op_sel:[0,0,1] op_sel_hi:[1,1,0] neg_lo:[0,0,1] neg_hi:[0,0,1]
	v_pk_add_f32 v[18:19], v[24:25], v[26:27] op_sel:[0,1] op_sel_hi:[1,0]
	v_mov_b32_e32 v33, v5
	v_pk_mul_f32 v[4:5], v[152:153], v[12:13]
	s_nop 0
	v_pk_fma_f32 v[8:9], v[94:95], v[12:13], v[4:5] op_sel:[0,0,1] op_sel_hi:[1,1,0]
	v_pk_fma_f32 v[4:5], v[94:95], v[12:13], v[4:5] op_sel:[0,0,1] op_sel_hi:[1,1,0] neg_lo:[0,0,1] neg_hi:[0,0,1]
	s_nop 0
	v_mov_b32_e32 v9, v5
	s_waitcnt lgkmcnt(2)
	v_pk_add_f32 v[4:5], v[0:1], v[32:33] neg_lo:[0,1] neg_hi:[0,1]
	v_pk_add_f32 v[8:9], v[34:35], v[8:9] neg_lo:[0,1] neg_hi:[0,1]
	v_pk_mul_f32 v[32:33], v[36:37], v[6:7]
	v_pk_fma_f32 v[12:13], v[34:35], 2.0, v[8:9] op_sel_hi:[1,0,1] neg_lo:[0,0,1] neg_hi:[0,0,1]
	v_pk_fma_f32 v[34:35], v[92:93], v[6:7], v[32:33] op_sel:[0,0,1] op_sel_hi:[1,1,0]
	v_pk_fma_f32 v[6:7], v[92:93], v[6:7], v[32:33] op_sel:[0,0,1] op_sel_hi:[1,1,0] neg_lo:[0,0,1] neg_hi:[0,0,1]
	v_pk_fma_f32 v[0:1], v[0:1], 2.0, v[4:5] op_sel_hi:[1,0,1] neg_lo:[0,0,1] neg_hi:[0,0,1]
	v_mov_b32_e32 v35, v7
	v_pk_mul_f32 v[6:7], v[38:39], v[10:11]
	v_pk_add_f32 v[12:13], v[0:1], v[12:13] neg_lo:[0,1] neg_hi:[0,1]
	v_pk_fma_f32 v[32:33], v[90:91], v[10:11], v[6:7] op_sel:[0,0,1] op_sel_hi:[1,1,0]
	v_pk_fma_f32 v[6:7], v[90:91], v[10:11], v[6:7] op_sel:[0,0,1] op_sel_hi:[1,1,0] neg_lo:[0,0,1] neg_hi:[0,0,1]
	v_pk_fma_f32 v[0:1], v[0:1], 2.0, v[12:13] op_sel_hi:[1,0,1] neg_lo:[0,0,1] neg_hi:[0,0,1]
	v_mov_b32_e32 v33, v7
	v_pk_mul_f32 v[6:7], v[150:151], v[14:15]
	s_nop 0
	v_pk_fma_f32 v[10:11], v[82:83], v[14:15], v[6:7] op_sel:[0,0,1] op_sel_hi:[1,1,0]
	v_pk_fma_f32 v[6:7], v[82:83], v[14:15], v[6:7] op_sel:[0,0,1] op_sel_hi:[1,1,0] neg_lo:[0,0,1] neg_hi:[0,0,1]
	s_nop 0
	v_mov_b32_e32 v11, v7
	v_pk_add_f32 v[6:7], v[2:3], v[32:33] neg_lo:[0,1] neg_hi:[0,1]
	v_pk_add_f32 v[10:11], v[34:35], v[10:11] neg_lo:[0,1] neg_hi:[0,1]
	v_pk_fma_f32 v[2:3], v[2:3], 2.0, v[6:7] op_sel_hi:[1,0,1] neg_lo:[0,0,1] neg_hi:[0,0,1]
	v_pk_fma_f32 v[14:15], v[34:35], 2.0, v[10:11] op_sel_hi:[1,0,1] neg_lo:[0,0,1] neg_hi:[0,0,1]
	v_pk_add_f32 v[32:33], v[16:17], v[20:21] op_sel:[0,1] op_sel_hi:[1,0]
	v_pk_add_f32 v[20:21], v[16:17], v[20:21] op_sel:[0,1] op_sel_hi:[1,0] neg_lo:[0,1] neg_hi:[0,1]
	v_pk_add_f32 v[14:15], v[2:3], v[14:15] neg_lo:[0,1] neg_hi:[0,1]
	v_mov_b32_e32 v33, v21
	v_pk_add_f32 v[20:21], v[24:25], v[26:27] op_sel:[0,1] op_sel_hi:[1,0] neg_lo:[0,1] neg_hi:[0,1]
	v_pk_fma_f32 v[2:3], v[2:3], 2.0, v[14:15] op_sel_hi:[1,0,1] neg_lo:[0,0,1] neg_hi:[0,0,1]
	v_pk_fma_f32 v[16:17], v[16:17], 2.0, v[32:33] op_sel_hi:[1,0,1] neg_lo:[0,0,1] neg_hi:[0,0,1]
	v_mov_b32_e32 v19, v21
	v_pk_fma_f32 v[20:21], v[24:25], 2.0, v[18:19] op_sel_hi:[1,0,1] neg_lo:[0,0,1] neg_hi:[0,0,1]
	ds_write2_b64 v54, v[32:33], v[18:19] offset0:20 offset1:139
	ds_write2_b64 v52, v[16:17], v[20:21] offset0:92 offset1:211
	v_pk_add_f32 v[16:17], v[4:5], v[8:9] op_sel:[0,1] op_sel_hi:[1,0]
	v_pk_add_f32 v[8:9], v[4:5], v[8:9] op_sel:[0,1] op_sel_hi:[1,0] neg_lo:[0,1] neg_hi:[0,1]
	ds_write2_b64 v44, v[0:1], v[2:3] offset0:110 offset1:229
	v_pk_add_f32 v[0:1], v[6:7], v[10:11] op_sel:[0,1] op_sel_hi:[1,0]
	v_pk_add_f32 v[2:3], v[6:7], v[10:11] op_sel:[0,1] op_sel_hi:[1,0] neg_lo:[0,1] neg_hi:[0,1]
	v_mov_b32_e32 v17, v9
	v_mov_b32_e32 v1, v3
	v_pk_fma_f32 v[4:5], v[4:5], 2.0, v[16:17] op_sel_hi:[1,0,1] neg_lo:[0,0,1] neg_hi:[0,0,1]
	v_pk_fma_f32 v[2:3], v[6:7], 2.0, v[0:1] op_sel_hi:[1,0,1] neg_lo:[0,0,1] neg_hi:[0,0,1]
	ds_write2_b64 v45, v[4:5], v[2:3] offset0:74 offset1:193
	ds_write2_b64 v46, v[12:13], v[14:15] offset0:38 offset1:157
	;; [unrolled: 1-line block ×3, first 2 shown]
	s_waitcnt lgkmcnt(0)
	s_barrier
	s_and_b64 exec, exec, s[6:7]
	s_cbranch_execz .LBB0_25
; %bb.24:
	global_load_dwordx2 v[2:3], v86, s[12:13]
	ds_read_b64 v[6:7], v85
	v_mad_u64_u32 v[4:5], s[0:1], s10, v212, 0
	v_mov_b32_e32 v10, v5
	v_mad_u64_u32 v[10:11], s[4:5], s11, v212, v[10:11]
	v_mov_b32_e32 v0, s16
	v_mov_b32_e32 v1, s17
	;; [unrolled: 1-line block ×3, first 2 shown]
	v_mad_u64_u32 v[8:9], s[4:5], s8, v84, 0
	v_lshl_add_u64 v[0:1], v[4:5], 3, v[0:1]
	s_mov_b32 s0, 0x1135c811
	v_mov_b32_e32 v12, v9
	s_mov_b32 s1, 0x3f4135c8
	v_mad_u64_u32 v[12:13], s[4:5], s9, v84, v[12:13]
	v_mov_b32_e32 v9, v12
	v_lshl_add_u64 v[8:9], v[8:9], 3, v[0:1]
	v_mov_b32_e32 v16, 0x380
	s_mul_i32 s3, s9, 0x380
	v_mov_b32_e32 v87, 0
	v_or_b32_e32 v15, 0x380, v84
	s_mul_i32 s6, s9, 0x700
	s_waitcnt vmcnt(0) lgkmcnt(0)
	v_mul_f32_e32 v4, v7, v3
	v_mul_f32_e32 v3, v6, v3
	v_fmac_f32_e32 v4, v6, v2
	v_fma_f32 v5, v2, v7, -v3
	v_cvt_f64_f32_e32 v[2:3], v4
	v_cvt_f64_f32_e32 v[4:5], v5
	v_mul_f64 v[2:3], v[2:3], s[0:1]
	v_mul_f64 v[4:5], v[4:5], s[0:1]
	v_cvt_f32_f64_e32 v2, v[2:3]
	v_cvt_f32_f64_e32 v3, v[4:5]
	global_store_dwordx2 v[8:9], v[2:3], off
	global_load_dwordx2 v[6:7], v86, s[12:13] offset:896
	ds_read2_b64 v[2:5], v86 offset0:112 offset1:224
	v_mad_u64_u32 v[8:9], s[4:5], s8, v16, v[8:9]
	v_add_u32_e32 v9, s3, v9
	s_waitcnt vmcnt(0) lgkmcnt(0)
	v_mul_f32_e32 v10, v3, v7
	v_mul_f32_e32 v7, v2, v7
	v_fmac_f32_e32 v10, v2, v6
	v_fma_f32 v6, v6, v3, -v7
	v_cvt_f64_f32_e32 v[2:3], v10
	v_cvt_f64_f32_e32 v[6:7], v6
	v_mul_f64 v[2:3], v[2:3], s[0:1]
	v_mul_f64 v[6:7], v[6:7], s[0:1]
	v_cvt_f32_f64_e32 v2, v[2:3]
	v_cvt_f32_f64_e32 v3, v[6:7]
	global_store_dwordx2 v[8:9], v[2:3], off
	global_load_dwordx2 v[2:3], v86, s[12:13] offset:1792
	v_mad_u64_u32 v[6:7], s[4:5], s8, v16, v[8:9]
	v_add_u32_e32 v7, s3, v7
	s_waitcnt vmcnt(0)
	v_mul_f32_e32 v8, v5, v3
	v_mul_f32_e32 v3, v4, v3
	v_fmac_f32_e32 v8, v4, v2
	v_fma_f32 v4, v2, v5, -v3
	v_cvt_f64_f32_e32 v[2:3], v8
	v_cvt_f64_f32_e32 v[4:5], v4
	v_mul_f64 v[2:3], v[2:3], s[0:1]
	v_mul_f64 v[4:5], v[4:5], s[0:1]
	v_cvt_f32_f64_e32 v2, v[2:3]
	v_cvt_f32_f64_e32 v3, v[4:5]
	global_store_dwordx2 v[6:7], v[2:3], off
	global_load_dwordx2 v[8:9], v86, s[12:13] offset:2688
	v_add_u32_e32 v2, 0x800, v86
	ds_read2_b64 v[2:5], v2 offset0:80 offset1:192
	v_mad_u64_u32 v[6:7], s[4:5], s8, v16, v[6:7]
	v_add_u32_e32 v7, s3, v7
	s_movk_i32 s4, 0x1000
	s_waitcnt vmcnt(0) lgkmcnt(0)
	v_mul_f32_e32 v10, v3, v9
	v_mul_f32_e32 v9, v2, v9
	v_fmac_f32_e32 v10, v2, v8
	v_fma_f32 v8, v8, v3, -v9
	v_cvt_f64_f32_e32 v[2:3], v10
	v_cvt_f64_f32_e32 v[8:9], v8
	v_mul_f64 v[2:3], v[2:3], s[0:1]
	v_mul_f64 v[8:9], v[8:9], s[0:1]
	v_cvt_f32_f64_e32 v2, v[2:3]
	v_cvt_f32_f64_e32 v3, v[8:9]
	global_store_dwordx2 v[6:7], v[2:3], off
	global_load_dwordx2 v[8:9], v86, s[12:13] offset:3584
	v_lshl_add_u64 v[2:3], s[12:13], 0, v[86:87]
	v_add_co_u32_e32 v10, vcc, s4, v2
	v_mad_u64_u32 v[12:13], s[4:5], s8, v16, v[6:7]
	v_add_u32_e32 v13, s3, v13
	v_addc_co_u32_e32 v11, vcc, 0, v3, vcc
	s_waitcnt vmcnt(0)
	v_mul_f32_e32 v6, v5, v9
	v_mul_f32_e32 v7, v4, v9
	v_fmac_f32_e32 v6, v4, v8
	v_fma_f32 v7, v8, v5, -v7
	v_cvt_f64_f32_e32 v[4:5], v6
	v_cvt_f64_f32_e32 v[6:7], v7
	v_mul_f64 v[4:5], v[4:5], s[0:1]
	v_mul_f64 v[6:7], v[6:7], s[0:1]
	v_cvt_f32_f64_e32 v4, v[4:5]
	v_cvt_f32_f64_e32 v5, v[6:7]
	global_store_dwordx2 v[12:13], v[4:5], off
	global_load_dwordx2 v[8:9], v[10:11], off offset:384
	v_add_u32_e32 v4, 0x1000, v86
	ds_read2_b64 v[4:7], v4 offset0:48 offset1:160
	v_mad_u64_u32 v[12:13], s[4:5], s8, v16, v[12:13]
	v_add_u32_e32 v13, s3, v13
	s_waitcnt vmcnt(0) lgkmcnt(0)
	v_mul_f32_e32 v14, v5, v9
	v_mul_f32_e32 v9, v4, v9
	v_fmac_f32_e32 v14, v4, v8
	v_fma_f32 v8, v8, v5, -v9
	v_cvt_f64_f32_e32 v[4:5], v14
	v_cvt_f64_f32_e32 v[8:9], v8
	v_mul_f64 v[4:5], v[4:5], s[0:1]
	v_mul_f64 v[8:9], v[8:9], s[0:1]
	v_cvt_f32_f64_e32 v4, v[4:5]
	v_cvt_f32_f64_e32 v5, v[8:9]
	global_store_dwordx2 v[12:13], v[4:5], off
	global_load_dwordx2 v[4:5], v[10:11], off offset:1280
	v_mad_u64_u32 v[8:9], s[4:5], s8, v16, v[12:13]
	v_add_u32_e32 v9, s3, v9
	v_lshlrev_b32_e32 v14, 3, v15
	s_waitcnt vmcnt(0)
	v_mul_f32_e32 v12, v7, v5
	v_mul_f32_e32 v5, v6, v5
	v_fmac_f32_e32 v12, v6, v4
	v_fma_f32 v6, v4, v7, -v5
	v_cvt_f64_f32_e32 v[4:5], v12
	v_cvt_f64_f32_e32 v[6:7], v6
	v_mul_f64 v[4:5], v[4:5], s[0:1]
	v_mul_f64 v[6:7], v[6:7], s[0:1]
	v_cvt_f32_f64_e32 v4, v[4:5]
	v_cvt_f32_f64_e32 v5, v[6:7]
	global_store_dwordx2 v[8:9], v[4:5], off
	global_load_dwordx2 v[12:13], v[10:11], off offset:2176
	v_add_u32_e32 v4, 0x1800, v86
	ds_read2_b64 v[4:7], v4 offset0:16 offset1:128
	v_mad_u64_u32 v[8:9], s[4:5], s8, v16, v[8:9]
	v_add_u32_e32 v9, s3, v9
	s_waitcnt vmcnt(0) lgkmcnt(0)
	v_mul_f32_e32 v17, v5, v13
	v_mul_f32_e32 v13, v4, v13
	v_fmac_f32_e32 v17, v4, v12
	v_fma_f32 v12, v12, v5, -v13
	v_cvt_f64_f32_e32 v[4:5], v17
	v_cvt_f64_f32_e32 v[12:13], v12
	v_mul_f64 v[4:5], v[4:5], s[0:1]
	v_mul_f64 v[12:13], v[12:13], s[0:1]
	v_cvt_f32_f64_e32 v4, v[4:5]
	v_cvt_f32_f64_e32 v5, v[12:13]
	global_store_dwordx2 v[8:9], v[4:5], off
	global_load_dwordx2 v[4:5], v14, s[12:13]
	v_mad_u64_u32 v[12:13], s[4:5], s8, v15, 0
	v_mov_b32_e32 v14, v13
	v_mad_u64_u32 v[14:15], s[4:5], s9, v15, v[14:15]
	v_mov_b32_e32 v13, v14
	v_lshl_add_u64 v[12:13], v[12:13], 3, v[0:1]
	s_movk_i32 s4, 0x2000
	s_waitcnt vmcnt(0)
	v_mul_f32_e32 v14, v7, v5
	v_mul_f32_e32 v5, v6, v5
	v_fmac_f32_e32 v14, v6, v4
	v_fma_f32 v6, v4, v7, -v5
	v_cvt_f64_f32_e32 v[4:5], v14
	v_cvt_f64_f32_e32 v[6:7], v6
	v_mul_f64 v[4:5], v[4:5], s[0:1]
	v_mul_f64 v[6:7], v[6:7], s[0:1]
	v_cvt_f32_f64_e32 v4, v[4:5]
	v_cvt_f32_f64_e32 v5, v[6:7]
	global_store_dwordx2 v[12:13], v[4:5], off
	global_load_dwordx2 v[10:11], v[10:11], off offset:3968
	v_add_u32_e32 v4, 0x1c00, v86
	ds_read2_b64 v[4:7], v4 offset0:112 offset1:224
	v_mov_b32_e32 v14, 0x700
	v_add_co_u32_e32 v12, vcc, s4, v2
	v_mad_u64_u32 v[8:9], s[4:5], s8, v14, v[8:9]
	v_add_u32_e32 v9, s6, v9
	v_addc_co_u32_e32 v13, vcc, 0, v3, vcc
	v_add_co_u32_e32 v2, vcc, s2, v2
	s_waitcnt vmcnt(0) lgkmcnt(0)
	v_mul_f32_e32 v14, v5, v11
	v_mul_f32_e32 v11, v4, v11
	v_fmac_f32_e32 v14, v4, v10
	v_fma_f32 v10, v10, v5, -v11
	v_cvt_f64_f32_e32 v[4:5], v14
	v_cvt_f64_f32_e32 v[10:11], v10
	v_mul_f64 v[4:5], v[4:5], s[0:1]
	v_mul_f64 v[10:11], v[10:11], s[0:1]
	v_cvt_f32_f64_e32 v4, v[4:5]
	v_cvt_f32_f64_e32 v5, v[10:11]
	global_store_dwordx2 v[8:9], v[4:5], off
	global_load_dwordx2 v[4:5], v[12:13], off offset:768
	v_mad_u64_u32 v[8:9], s[4:5], s8, v16, v[8:9]
	v_add_u32_e32 v9, s3, v9
	v_addc_co_u32_e32 v3, vcc, 0, v3, vcc
	s_waitcnt vmcnt(0)
	v_mul_f32_e32 v10, v7, v5
	v_mul_f32_e32 v5, v6, v5
	v_fmac_f32_e32 v10, v6, v4
	v_fma_f32 v6, v4, v7, -v5
	v_cvt_f64_f32_e32 v[4:5], v10
	v_cvt_f64_f32_e32 v[6:7], v6
	v_mul_f64 v[4:5], v[4:5], s[0:1]
	v_mul_f64 v[6:7], v[6:7], s[0:1]
	v_cvt_f32_f64_e32 v4, v[4:5]
	v_cvt_f32_f64_e32 v5, v[6:7]
	global_store_dwordx2 v[8:9], v[4:5], off
	global_load_dwordx2 v[10:11], v[12:13], off offset:1664
	v_add_u32_e32 v4, 0x2400, v86
	ds_read2_b64 v[4:7], v4 offset0:80 offset1:192
	v_mad_u64_u32 v[8:9], s[4:5], s8, v16, v[8:9]
	v_add_u32_e32 v9, s3, v9
	s_waitcnt vmcnt(0) lgkmcnt(0)
	v_mul_f32_e32 v14, v5, v11
	v_mul_f32_e32 v11, v4, v11
	v_fmac_f32_e32 v14, v4, v10
	v_fma_f32 v10, v10, v5, -v11
	v_cvt_f64_f32_e32 v[4:5], v14
	v_cvt_f64_f32_e32 v[10:11], v10
	v_mul_f64 v[4:5], v[4:5], s[0:1]
	v_mul_f64 v[10:11], v[10:11], s[0:1]
	v_cvt_f32_f64_e32 v4, v[4:5]
	v_cvt_f32_f64_e32 v5, v[10:11]
	global_store_dwordx2 v[8:9], v[4:5], off
	global_load_dwordx2 v[4:5], v[12:13], off offset:2560
	v_mad_u64_u32 v[8:9], s[4:5], s8, v16, v[8:9]
	v_add_u32_e32 v9, s3, v9
	s_waitcnt vmcnt(0)
	v_mul_f32_e32 v10, v7, v5
	v_mul_f32_e32 v5, v6, v5
	v_fmac_f32_e32 v10, v6, v4
	v_fma_f32 v6, v4, v7, -v5
	v_cvt_f64_f32_e32 v[4:5], v10
	v_cvt_f64_f32_e32 v[6:7], v6
	v_mul_f64 v[4:5], v[4:5], s[0:1]
	v_mul_f64 v[6:7], v[6:7], s[0:1]
	v_cvt_f32_f64_e32 v4, v[4:5]
	v_cvt_f32_f64_e32 v5, v[6:7]
	global_store_dwordx2 v[8:9], v[4:5], off
	global_load_dwordx2 v[10:11], v[12:13], off offset:3456
	v_add_u32_e32 v4, 0x2c00, v86
	ds_read2_b64 v[4:7], v4 offset0:48 offset1:160
	v_mad_u64_u32 v[8:9], s[4:5], s8, v16, v[8:9]
	v_add_u32_e32 v9, s3, v9
	s_waitcnt vmcnt(0) lgkmcnt(0)
	v_mul_f32_e32 v12, v5, v11
	v_mul_f32_e32 v11, v4, v11
	v_fmac_f32_e32 v12, v4, v10
	v_fma_f32 v10, v10, v5, -v11
	v_cvt_f64_f32_e32 v[4:5], v12
	v_cvt_f64_f32_e32 v[10:11], v10
	v_mul_f64 v[4:5], v[4:5], s[0:1]
	v_mul_f64 v[10:11], v[10:11], s[0:1]
	v_cvt_f32_f64_e32 v4, v[4:5]
	v_cvt_f32_f64_e32 v5, v[10:11]
	global_store_dwordx2 v[8:9], v[4:5], off
	global_load_dwordx2 v[4:5], v[2:3], off offset:256
	v_mad_u64_u32 v[8:9], s[4:5], s8, v16, v[8:9]
	v_add_u32_e32 v9, s3, v9
	s_waitcnt vmcnt(0)
	v_mul_f32_e32 v10, v7, v5
	v_mul_f32_e32 v5, v6, v5
	v_fmac_f32_e32 v10, v6, v4
	v_fma_f32 v6, v4, v7, -v5
	v_cvt_f64_f32_e32 v[4:5], v10
	v_cvt_f64_f32_e32 v[6:7], v6
	v_mul_f64 v[4:5], v[4:5], s[0:1]
	v_mul_f64 v[6:7], v[6:7], s[0:1]
	v_cvt_f32_f64_e32 v4, v[4:5]
	v_cvt_f32_f64_e32 v5, v[6:7]
	global_store_dwordx2 v[8:9], v[4:5], off
	global_load_dwordx2 v[6:7], v[2:3], off offset:1152
	v_add_u32_e32 v2, 0x3400, v86
	ds_read2_b64 v[2:5], v2 offset0:16 offset1:128
	v_mad_u64_u32 v[8:9], s[4:5], s8, v16, v[8:9]
	v_or_b32_e32 v10, 0x700, v84
	v_add_u32_e32 v9, s3, v9
	v_lshlrev_b32_e32 v11, 3, v10
	s_waitcnt vmcnt(0) lgkmcnt(0)
	v_mul_f32_e32 v12, v3, v7
	v_mul_f32_e32 v7, v2, v7
	v_fmac_f32_e32 v12, v2, v6
	v_fma_f32 v6, v6, v3, -v7
	v_cvt_f64_f32_e32 v[2:3], v12
	v_cvt_f64_f32_e32 v[6:7], v6
	v_mul_f64 v[2:3], v[2:3], s[0:1]
	v_mul_f64 v[6:7], v[6:7], s[0:1]
	v_cvt_f32_f64_e32 v2, v[2:3]
	v_cvt_f32_f64_e32 v3, v[6:7]
	global_store_dwordx2 v[8:9], v[2:3], off
	global_load_dwordx2 v[2:3], v11, s[12:13]
	v_mad_u64_u32 v[6:7], s[2:3], s8, v10, 0
	v_mov_b32_e32 v8, v7
	v_mad_u64_u32 v[8:9], s[2:3], s9, v10, v[8:9]
	v_mov_b32_e32 v7, v8
	v_lshl_add_u64 v[0:1], v[6:7], 3, v[0:1]
	s_waitcnt vmcnt(0)
	v_mul_f32_e32 v8, v5, v3
	v_mul_f32_e32 v3, v4, v3
	v_fmac_f32_e32 v8, v4, v2
	v_fma_f32 v4, v2, v5, -v3
	v_cvt_f64_f32_e32 v[2:3], v8
	v_cvt_f64_f32_e32 v[4:5], v4
	v_mul_f64 v[2:3], v[2:3], s[0:1]
	v_mul_f64 v[4:5], v[4:5], s[0:1]
	v_cvt_f32_f64_e32 v2, v[2:3]
	v_cvt_f32_f64_e32 v3, v[4:5]
	global_store_dwordx2 v[0:1], v[2:3], off
.LBB0_25:
	s_endpgm
	.section	.rodata,"a",@progbits
	.p2align	6, 0x0
	.amdhsa_kernel bluestein_single_fwd_len1904_dim1_sp_op_CI_CI
		.amdhsa_group_segment_fixed_size 15232
		.amdhsa_private_segment_fixed_size 0
		.amdhsa_kernarg_size 104
		.amdhsa_user_sgpr_count 2
		.amdhsa_user_sgpr_dispatch_ptr 0
		.amdhsa_user_sgpr_queue_ptr 0
		.amdhsa_user_sgpr_kernarg_segment_ptr 1
		.amdhsa_user_sgpr_dispatch_id 0
		.amdhsa_user_sgpr_kernarg_preload_length 0
		.amdhsa_user_sgpr_kernarg_preload_offset 0
		.amdhsa_user_sgpr_private_segment_size 0
		.amdhsa_uses_dynamic_stack 0
		.amdhsa_enable_private_segment 0
		.amdhsa_system_sgpr_workgroup_id_x 1
		.amdhsa_system_sgpr_workgroup_id_y 0
		.amdhsa_system_sgpr_workgroup_id_z 0
		.amdhsa_system_sgpr_workgroup_info 0
		.amdhsa_system_vgpr_workitem_id 0
		.amdhsa_next_free_vgpr 386
		.amdhsa_next_free_sgpr 84
		.amdhsa_accum_offset 256
		.amdhsa_reserve_vcc 1
		.amdhsa_float_round_mode_32 0
		.amdhsa_float_round_mode_16_64 0
		.amdhsa_float_denorm_mode_32 3
		.amdhsa_float_denorm_mode_16_64 3
		.amdhsa_dx10_clamp 1
		.amdhsa_ieee_mode 1
		.amdhsa_fp16_overflow 0
		.amdhsa_tg_split 0
		.amdhsa_exception_fp_ieee_invalid_op 0
		.amdhsa_exception_fp_denorm_src 0
		.amdhsa_exception_fp_ieee_div_zero 0
		.amdhsa_exception_fp_ieee_overflow 0
		.amdhsa_exception_fp_ieee_underflow 0
		.amdhsa_exception_fp_ieee_inexact 0
		.amdhsa_exception_int_div_zero 0
	.end_amdhsa_kernel
	.text
.Lfunc_end0:
	.size	bluestein_single_fwd_len1904_dim1_sp_op_CI_CI, .Lfunc_end0-bluestein_single_fwd_len1904_dim1_sp_op_CI_CI
                                        ; -- End function
	.section	.AMDGPU.csdata,"",@progbits
; Kernel info:
; codeLenInByte = 25300
; NumSgprs: 90
; NumVgprs: 256
; NumAgprs: 130
; TotalNumVgprs: 386
; ScratchSize: 0
; MemoryBound: 0
; FloatMode: 240
; IeeeMode: 1
; LDSByteSize: 15232 bytes/workgroup (compile time only)
; SGPRBlocks: 11
; VGPRBlocks: 48
; NumSGPRsForWavesPerEU: 90
; NumVGPRsForWavesPerEU: 386
; AccumOffset: 256
; Occupancy: 1
; WaveLimiterHint : 1
; COMPUTE_PGM_RSRC2:SCRATCH_EN: 0
; COMPUTE_PGM_RSRC2:USER_SGPR: 2
; COMPUTE_PGM_RSRC2:TRAP_HANDLER: 0
; COMPUTE_PGM_RSRC2:TGID_X_EN: 1
; COMPUTE_PGM_RSRC2:TGID_Y_EN: 0
; COMPUTE_PGM_RSRC2:TGID_Z_EN: 0
; COMPUTE_PGM_RSRC2:TIDIG_COMP_CNT: 0
; COMPUTE_PGM_RSRC3_GFX90A:ACCUM_OFFSET: 63
; COMPUTE_PGM_RSRC3_GFX90A:TG_SPLIT: 0
	.text
	.p2alignl 6, 3212836864
	.fill 256, 4, 3212836864
	.type	__hip_cuid_5c288ab459ce2f14,@object ; @__hip_cuid_5c288ab459ce2f14
	.section	.bss,"aw",@nobits
	.globl	__hip_cuid_5c288ab459ce2f14
__hip_cuid_5c288ab459ce2f14:
	.byte	0                               ; 0x0
	.size	__hip_cuid_5c288ab459ce2f14, 1

	.ident	"AMD clang version 19.0.0git (https://github.com/RadeonOpenCompute/llvm-project roc-6.4.0 25133 c7fe45cf4b819c5991fe208aaa96edf142730f1d)"
	.section	".note.GNU-stack","",@progbits
	.addrsig
	.addrsig_sym __hip_cuid_5c288ab459ce2f14
	.amdgpu_metadata
---
amdhsa.kernels:
  - .agpr_count:     130
    .args:
      - .actual_access:  read_only
        .address_space:  global
        .offset:         0
        .size:           8
        .value_kind:     global_buffer
      - .actual_access:  read_only
        .address_space:  global
        .offset:         8
        .size:           8
        .value_kind:     global_buffer
      - .actual_access:  read_only
        .address_space:  global
        .offset:         16
        .size:           8
        .value_kind:     global_buffer
      - .actual_access:  read_only
        .address_space:  global
        .offset:         24
        .size:           8
        .value_kind:     global_buffer
      - .actual_access:  read_only
        .address_space:  global
        .offset:         32
        .size:           8
        .value_kind:     global_buffer
      - .offset:         40
        .size:           8
        .value_kind:     by_value
      - .address_space:  global
        .offset:         48
        .size:           8
        .value_kind:     global_buffer
      - .address_space:  global
        .offset:         56
        .size:           8
        .value_kind:     global_buffer
      - .address_space:  global
        .offset:         64
        .size:           8
        .value_kind:     global_buffer
      - .address_space:  global
        .offset:         72
        .size:           8
        .value_kind:     global_buffer
      - .offset:         80
        .size:           4
        .value_kind:     by_value
      - .address_space:  global
        .offset:         88
        .size:           8
        .value_kind:     global_buffer
      - .address_space:  global
        .offset:         96
        .size:           8
        .value_kind:     global_buffer
    .group_segment_fixed_size: 15232
    .kernarg_segment_align: 8
    .kernarg_segment_size: 104
    .language:       OpenCL C
    .language_version:
      - 2
      - 0
    .max_flat_workgroup_size: 119
    .name:           bluestein_single_fwd_len1904_dim1_sp_op_CI_CI
    .private_segment_fixed_size: 0
    .sgpr_count:     90
    .sgpr_spill_count: 0
    .symbol:         bluestein_single_fwd_len1904_dim1_sp_op_CI_CI.kd
    .uniform_work_group_size: 1
    .uses_dynamic_stack: false
    .vgpr_count:     386
    .vgpr_spill_count: 0
    .wavefront_size: 64
amdhsa.target:   amdgcn-amd-amdhsa--gfx950
amdhsa.version:
  - 1
  - 2
...

	.end_amdgpu_metadata
